;; amdgpu-corpus repo=LLNL/RAJAPerf kind=compiled arch=gfx1030 opt=O3
	.amdgcn_target "amdgcn-amd-amdhsa--gfx1030"
	.amdhsa_code_object_version 6
	.section	.text._ZN8rajaperf4apps15MassVec3DPALoopILm64EEEvPdS2_S2_S2_,"axG",@progbits,_ZN8rajaperf4apps15MassVec3DPALoopILm64EEEvPdS2_S2_S2_,comdat
	.protected	_ZN8rajaperf4apps15MassVec3DPALoopILm64EEEvPdS2_S2_S2_ ; -- Begin function _ZN8rajaperf4apps15MassVec3DPALoopILm64EEEvPdS2_S2_S2_
	.globl	_ZN8rajaperf4apps15MassVec3DPALoopILm64EEEvPdS2_S2_S2_
	.p2align	8
	.type	_ZN8rajaperf4apps15MassVec3DPALoopILm64EEEvPdS2_S2_S2_,@function
_ZN8rajaperf4apps15MassVec3DPALoopILm64EEEvPdS2_S2_S2_: ; @_ZN8rajaperf4apps15MassVec3DPALoopILm64EEEvPdS2_S2_S2_
; %bb.0:
	v_mov_b32_e32 v4, v1
	v_mov_b32_e32 v5, 0
	v_cmp_ne_u32_e64 s0, 0, v2
                                        ; kill: def $vgpr0 killed $vgpr0 def $vgpr1
	v_lshlrev_b32_e32 v20, 3, v0
	v_cmp_lt_u32_e64 s1, 2, v4
	v_lshlrev_b64 v[6:7], 5, v[4:5]
	v_mov_b32_e32 v9, v5
	v_mov_b32_e32 v8, v4
	v_cmp_gt_u32_e32 vcc_lo, 3, v4
	s_or_b32 s2, s0, s1
                                        ; implicit-def: $sgpr0_sgpr1
	s_and_saveexec_b32 s3, s2
	s_xor_b32 s2, exec_lo, s3
                                        ; implicit-def: $vgpr21
; %bb.1:
	v_lshlrev_b64 v[6:7], 5, v[4:5]
	v_mov_b32_e32 v1, v5
	v_mov_b32_e32 v21, v5
	s_add_u32 s0, s4, 32
	s_addc_u32 s1, s5, 0
                                        ; implicit-def: $vgpr8_vgpr9
; %bb.2:
	s_or_saveexec_b32 s3, s2
	s_load_dwordx8 s[8:15], s[4:5], 0x0
	v_mov_b32_e32 v15, s1
	v_mov_b32_e32 v14, s0
	s_xor_b32 exec_lo, exec_lo, s3
	s_cbranch_execz .LBB0_9
; %bb.3:
	s_load_dword s2, s[4:5], 0x2c
	v_add_co_u32 v3, s1, v6, v20
	v_mov_b32_e32 v1, 0
	v_add_co_ci_u32_e64 v11, null, 0, v7, s1
	v_lshlrev_b32_e32 v12, 5, v4
	v_mul_u32_u24_e32 v13, 24, v0
	v_lshlrev_b32_e32 v14, 3, v4
	s_waitcnt lgkmcnt(0)
	v_add_co_u32 v10, s1, s8, v3
	v_cmp_gt_u32_e64 s0, 4, v0
	s_add_u32 s4, s4, 32
	v_mov_b32_e32 v21, v1
	v_add_co_ci_u32_e64 v11, null, s9, v11, s1
	v_add3_u32 v3, v12, v20, 0x460
	v_add3_u32 v16, v13, v14, 0x400
	s_addc_u32 s5, s5, 0
	s_mov_b32 s7, 0
	s_lshr_b32 s8, s2, 16
	s_lshl_b32 s9, s8, 5
	s_lshl_b32 s16, s8, 3
	s_branch .LBB0_5
.LBB0_4:                                ;   in Loop: Header=BB0_5 Depth=1
	s_or_b32 exec_lo, exec_lo, s2
	v_add_co_u32 v8, s1, v8, s8
	v_add_co_ci_u32_e64 v9, null, 0, v9, s1
	v_add_co_u32 v10, s2, v10, s9
	v_add_co_ci_u32_e64 v11, null, 0, v11, s2
	v_cmp_lt_u64_e64 s1, 2, v[8:9]
	v_add_nc_u32_e32 v3, s9, v3
	v_add_nc_u32_e32 v16, s16, v16
	s_or_b32 s7, s1, s7
	s_andn2_b32 exec_lo, exec_lo, s7
	s_cbranch_execz .LBB0_8
.LBB0_5:                                ; =>This Loop Header: Depth=1
                                        ;     Child Loop BB0_7 Depth 2
	s_and_saveexec_b32 s2, s0
	s_cbranch_execz .LBB0_4
; %bb.6:                                ;   in Loop: Header=BB0_5 Depth=1
	s_load_dword s1, s[4:5], 0xc
	v_mov_b32_e32 v13, v11
	v_mov_b32_e32 v15, v1
	;; [unrolled: 1-line block ×6, first 2 shown]
	s_mov_b32 s20, 0
	s_waitcnt lgkmcnt(0)
	s_and_b32 s17, s1, 0xffff
	s_lshl_b32 s18, s17, 3
	s_mul_i32 s19, s17, 24
	.p2align	6
.LBB0_7:                                ;   Parent Loop BB0_5 Depth=1
                                        ; =>  This Inner Loop Header: Depth=2
	global_load_dwordx2 v[22:23], v[12:13], off
	v_add_co_u32 v14, s1, v14, s17
	v_add_co_ci_u32_e64 v15, null, 0, v15, s1
	v_add_co_u32 v12, s1, v12, s18
	v_add_co_ci_u32_e64 v13, null, 0, v13, s1
	v_cmp_lt_u64_e64 s1, 3, v[14:15]
	s_waitcnt vmcnt(0)
	ds_write_b64 v17, v[22:23]
	ds_write_b64 v18, v[22:23]
	v_add_nc_u32_e32 v18, s18, v18
	v_add_nc_u32_e32 v17, s19, v17
	s_or_b32 s20, s1, s20
	s_andn2_b32 exec_lo, exec_lo, s20
	s_cbranch_execnz .LBB0_7
	s_branch .LBB0_4
.LBB0_8:
	s_or_b32 exec_lo, exec_lo, s7
	v_mov_b32_e32 v15, s5
	v_mov_b32_e32 v14, s4
.LBB0_9:
	s_or_b32 exec_lo, exec_lo, s3
	v_mul_hi_u32_u24_e32 v9, 0x48, v2
	v_mul_u32_u24_e32 v8, 0x48, v2
	v_lshlrev_b32_e32 v13, 7, v2
	s_mov_b32 s7, 0
	v_mul_lo_u32 v11, v4, 24
	v_lshlrev_b32_e32 v10, 3, v0
	v_mad_u64_u32 v[8:9], null, 0x288, s6, v[8:9]
	s_lshl_b64 s[6:7], s[6:7], 9
	v_lshlrev_b32_e32 v12, 5, v4
	v_mad_u32_u24 v35, 0x60, v2, v10
	v_mad_u64_u32 v[18:19], null, v0, 24, 0x400
	v_add_nc_u32_e32 v23, v11, v10
	v_mad_u64_u32 v[8:9], null, v4, 24, v[8:9]
	v_add_nc_u32_e32 v38, v12, v10
	v_mov_b32_e32 v3, 0
	v_mad_u32_u24 v36, 0x48, v2, v23
	v_cmp_gt_u32_e64 s0, 3, v2
	v_cmp_gt_u32_e64 s1, 4, v2
	v_add_nc_u32_e32 v39, v38, v13
	v_add_co_u32 v8, s5, v8, v20
	v_add_co_ci_u32_e64 v9, null, v9, v21, s5
	v_cmp_gt_u32_e64 s2, 3, v0
	s_waitcnt lgkmcnt(0)
	v_add_co_u32 v16, s5, s12, v8
	v_add_co_ci_u32_e64 v17, null, s13, v9, s5
	v_add_co_u32 v22, s5, s6, v13
	v_add_co_ci_u32_e64 v24, null, s7, 0, s5
	v_cmp_gt_u32_e64 s3, 4, v0
	v_add_co_u32 v6, s5, v22, v6
	v_add_co_ci_u32_e64 v7, null, v24, v7, s5
	v_cmp_gt_u32_e64 s4, 4, v4
	v_add_co_u32 v6, s5, v6, v20
	v_add_co_ci_u32_e64 v7, null, v7, v21, s5
	v_add3_u32 v37, v35, v12, 0x200
	v_add_co_u32 v19, s5, s10, v6
	v_add_co_ci_u32_e64 v20, null, s11, v7, s5
	v_add_co_u32 v21, s5, s14, v8
	v_add_nc_u32_e32 v40, 0x200, v39
	v_add_nc_u32_e32 v41, v35, v11
	v_lshl_add_u32 v42, v0, 5, 0x460
	v_add_nc_u32_e32 v43, 0x200, v36
	v_add_co_ci_u32_e64 v22, null, s15, v9, s5
	v_add_nc_u32_e32 v44, 0x200, v23
	s_mov_b64 s[8:9], 0
	s_branch .LBB0_11
.LBB0_10:                               ;   in Loop: Header=BB0_11 Depth=1
	s_or_b32 exec_lo, exec_lo, s7
	v_add_co_u32 v16, s5, 0xd8, v16
	v_add_co_ci_u32_e64 v17, null, 0, v17, s5
	v_add_co_u32 v21, s5, 0xd8, v21
	s_add_u32 s8, s8, 1
	v_add_co_ci_u32_e64 v22, null, 0, v22, s5
	s_addc_u32 s9, s9, 0
	s_waitcnt_vscnt null, 0x0
	s_cmp_eq_u64 s[8:9], 3
	s_barrier
	buffer_gl0_inv
	s_cbranch_scc1 .LBB0_74
.LBB0_11:                               ; =>This Loop Header: Depth=1
                                        ;     Child Loop BB0_14 Depth 2
                                        ;       Child Loop BB0_17 Depth 3
                                        ;         Child Loop BB0_19 Depth 4
                                        ;     Child Loop BB0_23 Depth 2
                                        ;       Child Loop BB0_26 Depth 3
                                        ;         Child Loop BB0_28 Depth 4
	;; [unrolled: 3-line block ×7, first 2 shown]
	s_and_saveexec_b32 s7, s0
	s_cbranch_execz .LBB0_20
; %bb.12:                               ;   in Loop: Header=BB0_11 Depth=1
	global_load_ushort v6, v[14:15], off offset:16
	v_mov_b32_e32 v9, v3
	v_mov_b32_e32 v28, v36
	;; [unrolled: 1-line block ×3, first 2 shown]
	s_mov_b32 s10, 0
	s_waitcnt vmcnt(0)
	v_and_b32_e32 v27, 0xffff, v6
	v_mov_b32_e32 v6, v16
	v_mov_b32_e32 v7, v17
	v_mul_hi_u32_u24_e32 v29, 0x48, v27
	v_mul_u32_u24_e32 v30, 0x48, v27
	s_branch .LBB0_14
.LBB0_13:                               ;   in Loop: Header=BB0_14 Depth=2
	s_inst_prefetch 0x2
	s_or_b32 exec_lo, exec_lo, s11
	v_add_co_u32 v8, s5, v8, v27
	v_add_co_ci_u32_e64 v9, null, 0, v9, s5
	v_add_co_u32 v6, s6, v6, v30
	v_add_co_ci_u32_e64 v7, null, v7, v29, s6
	v_cmp_lt_u64_e64 s5, 2, v[8:9]
	v_add_nc_u32_e32 v28, v28, v30
	s_or_b32 s10, s5, s10
	s_andn2_b32 exec_lo, exec_lo, s10
	s_cbranch_execz .LBB0_20
.LBB0_14:                               ;   Parent Loop BB0_11 Depth=1
                                        ; =>  This Loop Header: Depth=2
                                        ;       Child Loop BB0_17 Depth 3
                                        ;         Child Loop BB0_19 Depth 4
	s_and_saveexec_b32 s11, vcc_lo
	s_cbranch_execz .LBB0_13
; %bb.15:                               ;   in Loop: Header=BB0_14 Depth=2
	global_load_ushort v10, v[14:15], off offset:14
	v_mov_b32_e32 v13, v5
	v_mov_b32_e32 v32, v28
	;; [unrolled: 1-line block ×3, first 2 shown]
	s_mov_b32 s12, 0
	s_waitcnt vmcnt(0)
	v_and_b32_e32 v31, 0xffff, v10
	v_mov_b32_e32 v11, v7
	v_mov_b32_e32 v10, v6
	v_mul_hi_u32_u24_e32 v33, 24, v31
	v_mul_u32_u24_e32 v34, 24, v31
	s_inst_prefetch 0x1
	s_branch .LBB0_17
	.p2align	6
.LBB0_16:                               ;   in Loop: Header=BB0_17 Depth=3
	s_or_b32 exec_lo, exec_lo, s13
	v_add_co_u32 v12, s5, v12, v31
	v_add_co_ci_u32_e64 v13, null, 0, v13, s5
	v_add_co_u32 v10, s6, v10, v34
	v_add_co_ci_u32_e64 v11, null, v11, v33, s6
	v_cmp_lt_u64_e64 s5, 2, v[12:13]
	v_add_nc_u32_e32 v32, v32, v34
	s_or_b32 s12, s5, s12
	s_andn2_b32 exec_lo, exec_lo, s12
	s_cbranch_execz .LBB0_13
.LBB0_17:                               ;   Parent Loop BB0_11 Depth=1
                                        ;     Parent Loop BB0_14 Depth=2
                                        ; =>    This Loop Header: Depth=3
                                        ;         Child Loop BB0_19 Depth 4
	s_and_saveexec_b32 s13, s2
	s_cbranch_execz .LBB0_16
; %bb.18:                               ;   in Loop: Header=BB0_17 Depth=3
	global_load_ushort v23, v[14:15], off offset:12
	v_mov_b32_e32 v26, v1
	v_mov_b32_e32 v46, v32
	;; [unrolled: 1-line block ×3, first 2 shown]
	s_mov_b32 s14, 0
	s_waitcnt vmcnt(0)
	v_and_b32_e32 v45, 0xffff, v23
	v_mov_b32_e32 v24, v11
	v_mov_b32_e32 v23, v10
	v_lshlrev_b32_e32 v47, 3, v45
	.p2align	6
.LBB0_19:                               ;   Parent Loop BB0_11 Depth=1
                                        ;     Parent Loop BB0_14 Depth=2
                                        ;       Parent Loop BB0_17 Depth=3
                                        ; =>      This Inner Loop Header: Depth=4
	global_load_dwordx2 v[48:49], v[23:24], off
	v_add_co_u32 v25, s5, v25, v45
	v_add_co_ci_u32_e64 v26, null, 0, v26, s5
	v_add_co_u32 v23, s5, v23, v47
	v_add_co_ci_u32_e64 v24, null, 0, v24, s5
	v_cmp_lt_u64_e64 s6, 2, v[25:26]
	s_or_b32 s14, s6, s14
	s_waitcnt vmcnt(0)
	ds_write_b64 v46, v[48:49]
	v_add_nc_u32_e32 v46, v46, v47
	s_andn2_b32 exec_lo, exec_lo, s14
	s_cbranch_execnz .LBB0_19
	s_branch .LBB0_16
.LBB0_20:                               ;   in Loop: Header=BB0_11 Depth=1
	s_or_b32 exec_lo, exec_lo, s7
	s_waitcnt lgkmcnt(0)
	s_barrier
	buffer_gl0_inv
	s_and_saveexec_b32 s6, s0
	s_cbranch_execz .LBB0_29
; %bb.21:                               ;   in Loop: Header=BB0_11 Depth=1
	global_load_ushort v6, v[14:15], off offset:16
	v_mov_b32_e32 v11, v3
	v_mov_b32_e32 v29, v37
	;; [unrolled: 1-line block ×3, first 2 shown]
	s_mov_b32 s7, 0
	s_waitcnt vmcnt(0)
	v_and_b32_e32 v13, 0xffff, v6
	v_mul_u32_u24_e32 v30, 0x60, v13
	s_branch .LBB0_23
.LBB0_22:                               ;   in Loop: Header=BB0_23 Depth=2
	s_or_b32 exec_lo, exec_lo, s10
	v_add_co_u32 v10, s5, v10, v13
	v_add_co_ci_u32_e64 v11, null, 0, v11, s5
	v_add_nc_u32_e32 v29, v29, v30
	v_cmp_lt_u64_e64 s5, 2, v[10:11]
	s_or_b32 s7, s5, s7
	s_andn2_b32 exec_lo, exec_lo, s7
	s_cbranch_execz .LBB0_29
.LBB0_23:                               ;   Parent Loop BB0_11 Depth=1
                                        ; =>  This Loop Header: Depth=2
                                        ;       Child Loop BB0_26 Depth 3
                                        ;         Child Loop BB0_28 Depth 4
	s_and_saveexec_b32 s10, vcc_lo
	s_cbranch_execz .LBB0_22
; %bb.24:                               ;   in Loop: Header=BB0_23 Depth=2
	global_load_ushort v6, v[14:15], off offset:14
	v_mul_lo_u32 v12, 0x48, v10
	v_mov_b32_e32 v24, v5
	v_mov_b32_e32 v32, v29
	;; [unrolled: 1-line block ×3, first 2 shown]
	s_mov_b32 s11, 0
	s_waitcnt vmcnt(0)
	v_and_b32_e32 v31, 0xffff, v6
	v_lshlrev_b32_e32 v33, 5, v31
	s_branch .LBB0_26
.LBB0_25:                               ;   in Loop: Header=BB0_26 Depth=3
	s_or_b32 exec_lo, exec_lo, s12
	v_add_co_u32 v23, s5, v23, v31
	v_add_co_ci_u32_e64 v24, null, 0, v24, s5
	v_add_nc_u32_e32 v32, v32, v33
	v_cmp_lt_u64_e64 s5, 2, v[23:24]
	s_or_b32 s11, s5, s11
	s_andn2_b32 exec_lo, exec_lo, s11
	s_cbranch_execz .LBB0_22
.LBB0_26:                               ;   Parent Loop BB0_11 Depth=1
                                        ;     Parent Loop BB0_23 Depth=2
                                        ; =>    This Loop Header: Depth=3
                                        ;         Child Loop BB0_28 Depth 4
	s_and_saveexec_b32 s12, s3
	s_cbranch_execz .LBB0_25
; %bb.27:                               ;   in Loop: Header=BB0_26 Depth=3
	global_load_ushort v27, v[14:15], off offset:12
	v_mad_u64_u32 v[25:26], null, v23, 24, v[12:13]
	v_mov_b32_e32 v45, v18
	v_mov_b32_e32 v46, v32
	s_mov_b32 s13, 0
	ds_read2_b64 v[6:9], v25 offset1:1
	ds_read_b64 v[25:26], v25 offset:16
	s_waitcnt vmcnt(0)
	v_and_b32_e32 v34, 0xffff, v27
	v_mov_b32_e32 v28, v1
	v_mov_b32_e32 v27, v0
	v_lshlrev_b32_e32 v47, 3, v34
	v_mul_u32_u24_e32 v48, 24, v34
	.p2align	6
.LBB0_28:                               ;   Parent Loop BB0_11 Depth=1
                                        ;     Parent Loop BB0_23 Depth=2
                                        ;       Parent Loop BB0_26 Depth=3
                                        ; =>      This Inner Loop Header: Depth=4
	ds_read2_b64 v[49:52], v45 offset1:1
	ds_read_b64 v[53:54], v45 offset:16
	v_add_co_u32 v27, s5, v27, v34
	v_add_co_ci_u32_e64 v28, null, 0, v28, s5
	v_add_nc_u32_e32 v45, v45, v48
	v_cmp_lt_u64_e64 s5, 3, v[27:28]
	s_or_b32 s13, s5, s13
	s_waitcnt lgkmcnt(1)
	v_fma_f64 v[49:50], v[6:7], v[49:50], 0
	v_fma_f64 v[49:50], v[8:9], v[51:52], v[49:50]
	s_waitcnt lgkmcnt(0)
	v_fma_f64 v[49:50], v[25:26], v[53:54], v[49:50]
	ds_write_b64 v46, v[49:50]
	v_add_nc_u32_e32 v46, v46, v47
	s_andn2_b32 exec_lo, exec_lo, s13
	s_cbranch_execnz .LBB0_28
	s_branch .LBB0_25
.LBB0_29:                               ;   in Loop: Header=BB0_11 Depth=1
	s_or_b32 exec_lo, exec_lo, s6
	s_waitcnt lgkmcnt(0)
	s_barrier
	buffer_gl0_inv
	s_and_saveexec_b32 s6, s0
	s_cbranch_execz .LBB0_38
; %bb.30:                               ;   in Loop: Header=BB0_11 Depth=1
	global_load_ushort v6, v[14:15], off offset:16
	v_mov_b32_e32 v11, v3
	v_add_nc_u32_e32 v29, 0x200, v35
	v_mov_b32_e32 v28, v39
	v_mov_b32_e32 v10, v2
	s_mov_b32 s7, 0
	s_waitcnt vmcnt(0)
	v_and_b32_e32 v27, 0xffff, v6
	v_lshlrev_b32_e32 v30, 7, v27
	v_mul_u32_u24_e32 v31, 0x60, v27
	s_branch .LBB0_32
.LBB0_31:                               ;   in Loop: Header=BB0_32 Depth=2
	s_or_b32 exec_lo, exec_lo, s10
	v_add_co_u32 v10, s5, v10, v27
	v_add_co_ci_u32_e64 v11, null, 0, v11, s5
	v_add_nc_u32_e32 v28, v28, v30
	v_add_nc_u32_e32 v29, v29, v31
	v_cmp_lt_u64_e64 s5, 2, v[10:11]
	s_or_b32 s7, s5, s7
	s_andn2_b32 exec_lo, exec_lo, s7
	s_cbranch_execz .LBB0_38
.LBB0_32:                               ;   Parent Loop BB0_11 Depth=1
                                        ; =>  This Loop Header: Depth=2
                                        ;       Child Loop BB0_35 Depth 3
                                        ;         Child Loop BB0_37 Depth 4
	s_and_saveexec_b32 s10, s4
	s_cbranch_execz .LBB0_31
; %bb.33:                               ;   in Loop: Header=BB0_32 Depth=2
	global_load_ushort v6, v[14:15], off offset:14
	v_mov_b32_e32 v13, v5
	v_mov_b32_e32 v33, v28
	;; [unrolled: 1-line block ×3, first 2 shown]
	s_mov_b32 s11, 0
	s_waitcnt vmcnt(0)
	v_and_b32_e32 v32, 0xffff, v6
	v_lshlrev_b32_e32 v34, 5, v32
	s_branch .LBB0_35
.LBB0_34:                               ;   in Loop: Header=BB0_35 Depth=3
	s_or_b32 exec_lo, exec_lo, s12
	v_add_co_u32 v12, s5, v12, v32
	v_add_co_ci_u32_e64 v13, null, 0, v13, s5
	v_add_nc_u32_e32 v33, v33, v34
	v_cmp_lt_u64_e64 s5, 3, v[12:13]
	s_or_b32 s11, s5, s11
	s_andn2_b32 exec_lo, exec_lo, s11
	s_cbranch_execz .LBB0_31
.LBB0_35:                               ;   Parent Loop BB0_11 Depth=1
                                        ;     Parent Loop BB0_32 Depth=2
                                        ; =>    This Loop Header: Depth=3
                                        ;         Child Loop BB0_37 Depth 4
	s_and_saveexec_b32 s12, s3
	s_cbranch_execz .LBB0_34
; %bb.36:                               ;   in Loop: Header=BB0_35 Depth=3
	global_load_ushort v25, v[14:15], off offset:12
	v_mul_lo_u32 v23, v12, 24
	v_mov_b32_e32 v46, 0
	s_mov_b32 s13, 0
	ds_read2_b64 v[6:9], v23 offset0:128 offset1:129
	ds_read_b64 v[23:24], v23 offset:1040
	s_waitcnt vmcnt(0)
	v_and_b32_e32 v45, 0xffff, v25
	v_mov_b32_e32 v26, v1
	v_mov_b32_e32 v25, v0
	v_lshlrev_b32_e32 v47, 3, v45
	.p2align	6
.LBB0_37:                               ;   Parent Loop BB0_11 Depth=1
                                        ;     Parent Loop BB0_32 Depth=2
                                        ;       Parent Loop BB0_35 Depth=3
                                        ; =>      This Inner Loop Header: Depth=4
	v_add_nc_u32_e32 v52, v29, v46
	v_add_co_u32 v25, s5, v25, v45
	v_add_co_ci_u32_e64 v26, null, 0, v26, s5
	ds_read2_b64 v[48:51], v52 offset1:4
	v_cmp_lt_u64_e64 s5, 3, v[25:26]
	s_or_b32 s13, s5, s13
	s_waitcnt lgkmcnt(0)
	v_fma_f64 v[48:49], v[48:49], v[6:7], 0
	v_fma_f64 v[48:49], v[50:51], v[8:9], v[48:49]
	ds_read_b64 v[50:51], v52 offset:64
	s_waitcnt lgkmcnt(0)
	v_fma_f64 v[48:49], v[50:51], v[23:24], v[48:49]
	v_add_nc_u32_e32 v50, v33, v46
	v_add_nc_u32_e32 v46, v46, v47
	ds_write_b64 v50, v[48:49]
	s_andn2_b32 exec_lo, exec_lo, s13
	s_cbranch_execnz .LBB0_37
	s_branch .LBB0_34
.LBB0_38:                               ;   in Loop: Header=BB0_11 Depth=1
	s_or_b32 exec_lo, exec_lo, s6
	s_waitcnt lgkmcnt(0)
	s_barrier
	buffer_gl0_inv
	s_and_saveexec_b32 s7, s1
	s_cbranch_execz .LBB0_47
; %bb.39:                               ;   in Loop: Header=BB0_11 Depth=1
	global_load_ushort v6, v[14:15], off offset:16
	v_mov_b32_e32 v10, v19
	v_mov_b32_e32 v13, v3
	;; [unrolled: 1-line block ×5, first 2 shown]
	s_mov_b32 s10, 0
	s_waitcnt vmcnt(0)
	v_and_b32_e32 v34, 0xffff, v6
	v_lshlrev_b32_e32 v46, 7, v34
	s_branch .LBB0_41
.LBB0_40:                               ;   in Loop: Header=BB0_41 Depth=2
	s_or_b32 exec_lo, exec_lo, s11
	v_add_co_u32 v12, s5, v12, v34
	v_add_co_ci_u32_e64 v13, null, 0, v13, s5
	v_add_co_u32 v10, s6, v10, v46
	v_add_co_ci_u32_e64 v11, null, 0, v11, s6
	v_cmp_lt_u64_e64 s5, 3, v[12:13]
	v_add_nc_u32_e32 v45, v45, v46
	s_or_b32 s10, s5, s10
	s_andn2_b32 exec_lo, exec_lo, s10
	s_cbranch_execz .LBB0_47
.LBB0_41:                               ;   Parent Loop BB0_11 Depth=1
                                        ; =>  This Loop Header: Depth=2
                                        ;       Child Loop BB0_44 Depth 3
                                        ;         Child Loop BB0_46 Depth 4
	s_and_saveexec_b32 s11, s4
	s_cbranch_execz .LBB0_40
; %bb.42:                               ;   in Loop: Header=BB0_41 Depth=2
	global_load_ushort v6, v[14:15], off offset:14
	v_mad_u64_u32 v[23:24], null, v12, 24, 0x400
	v_mov_b32_e32 v25, v11
	v_mov_b32_e32 v27, v5
	;; [unrolled: 1-line block ×6, first 2 shown]
	s_mov_b32 s12, 0
	s_waitcnt vmcnt(0)
	v_and_b32_e32 v47, 0xffff, v6
	v_lshlrev_b32_e32 v50, 5, v47
	s_branch .LBB0_44
.LBB0_43:                               ;   in Loop: Header=BB0_44 Depth=3
	s_inst_prefetch 0x2
	s_or_b32 exec_lo, exec_lo, s13
	v_add_co_u32 v26, s5, v26, v47
	v_add_co_ci_u32_e64 v27, null, 0, v27, s5
	v_add_co_u32 v24, s6, v24, v50
	v_add_co_ci_u32_e64 v25, null, 0, v25, s6
	v_cmp_lt_u64_e64 s5, 3, v[26:27]
	v_add_nc_u32_e32 v49, v49, v50
	v_add_nc_u32_e32 v48, v48, v50
	s_or_b32 s12, s5, s12
	s_andn2_b32 exec_lo, exec_lo, s12
	s_cbranch_execz .LBB0_40
.LBB0_44:                               ;   Parent Loop BB0_11 Depth=1
                                        ;     Parent Loop BB0_41 Depth=2
                                        ; =>    This Loop Header: Depth=3
                                        ;         Child Loop BB0_46 Depth 4
	s_and_saveexec_b32 s13, s3
	s_cbranch_execz .LBB0_43
; %bb.45:                               ;   in Loop: Header=BB0_44 Depth=3
	global_load_ushort v30, v[14:15], off offset:12
	ds_read2_b64 v[6:9], v23 offset1:1
	ds_read_b64 v[28:29], v23 offset:16
	v_mov_b32_e32 v33, v1
	v_mov_b32_e32 v52, 0
	v_mov_b32_e32 v32, v0
	s_mov_b32 s14, 0
	s_waitcnt vmcnt(0)
	v_and_b32_e32 v51, 0xffff, v30
	v_mov_b32_e32 v31, v25
	v_mov_b32_e32 v30, v24
	v_lshlrev_b32_e32 v53, 3, v51
	s_inst_prefetch 0x1
	.p2align	6
.LBB0_46:                               ;   Parent Loop BB0_11 Depth=1
                                        ;     Parent Loop BB0_41 Depth=2
                                        ;       Parent Loop BB0_44 Depth=3
                                        ; =>      This Inner Loop Header: Depth=4
	global_load_dwordx2 v[58:59], v[30:31], off
	v_add_nc_u32_e32 v60, v48, v52
	v_add_co_u32 v32, s5, v32, v51
	v_add_co_ci_u32_e64 v33, null, 0, v33, s5
	ds_read2_b64 v[54:57], v60 offset1:16
	v_add_co_u32 v30, s6, v30, v53
	v_cmp_lt_u64_e64 s5, 3, v[32:33]
	v_add_co_ci_u32_e64 v31, null, 0, v31, s6
	s_or_b32 s14, s5, s14
	s_waitcnt lgkmcnt(0)
	v_fma_f64 v[54:55], v[54:55], v[6:7], 0
	v_fma_f64 v[54:55], v[56:57], v[8:9], v[54:55]
	ds_read_b64 v[56:57], v60 offset:256
	s_waitcnt lgkmcnt(0)
	v_fma_f64 v[54:55], v[56:57], v[28:29], v[54:55]
	v_add_nc_u32_e32 v56, v49, v52
	v_add_nc_u32_e32 v52, v52, v53
	s_waitcnt vmcnt(0)
	v_mul_f64 v[54:55], v[54:55], v[58:59]
	ds_write_b64 v56, v[54:55]
	s_andn2_b32 exec_lo, exec_lo, s14
	s_cbranch_execnz .LBB0_46
	s_branch .LBB0_43
.LBB0_47:                               ;   in Loop: Header=BB0_11 Depth=1
	s_or_b32 exec_lo, exec_lo, s7
	s_waitcnt lgkmcnt(0)
	s_barrier
	buffer_gl0_inv
	s_and_saveexec_b32 s6, s1
	s_cbranch_execz .LBB0_56
; %bb.48:                               ;   in Loop: Header=BB0_11 Depth=1
	global_load_ushort v6, v[14:15], off offset:16
	v_mov_b32_e32 v24, v3
	v_mov_b32_e32 v30, v41
	;; [unrolled: 1-line block ×3, first 2 shown]
	s_mov_b32 s7, 0
	s_waitcnt vmcnt(0)
	v_and_b32_e32 v29, 0xffff, v6
	v_mul_u32_u24_e32 v31, 0x60, v29
	s_branch .LBB0_50
.LBB0_49:                               ;   in Loop: Header=BB0_50 Depth=2
	s_or_b32 exec_lo, exec_lo, s10
	v_add_co_u32 v23, s5, v23, v29
	v_add_co_ci_u32_e64 v24, null, 0, v24, s5
	v_add_nc_u32_e32 v30, v30, v31
	v_cmp_lt_u64_e64 s5, 3, v[23:24]
	s_or_b32 s7, s5, s7
	s_andn2_b32 exec_lo, exec_lo, s7
	s_cbranch_execz .LBB0_56
.LBB0_50:                               ;   Parent Loop BB0_11 Depth=1
                                        ; =>  This Loop Header: Depth=2
                                        ;       Child Loop BB0_53 Depth 3
                                        ;         Child Loop BB0_55 Depth 4
	s_and_saveexec_b32 s10, s4
	s_cbranch_execz .LBB0_49
; %bb.51:                               ;   in Loop: Header=BB0_50 Depth=2
	global_load_ushort v6, v[14:15], off offset:14
	v_mov_b32_e32 v26, v5
	v_lshl_add_u32 v33, v23, 7, 0x200
	v_mov_b32_e32 v34, v30
	v_mov_b32_e32 v25, v4
	s_mov_b32 s11, 0
	s_waitcnt vmcnt(0)
	v_and_b32_e32 v32, 0xffff, v6
	v_mul_u32_u24_e32 v45, 24, v32
	s_branch .LBB0_53
.LBB0_52:                               ;   in Loop: Header=BB0_53 Depth=3
	s_or_b32 exec_lo, exec_lo, s12
	v_add_co_u32 v25, s5, v25, v32
	v_add_co_ci_u32_e64 v26, null, 0, v26, s5
	v_add_nc_u32_e32 v34, v34, v45
	v_cmp_lt_u64_e64 s5, 3, v[25:26]
	s_or_b32 s11, s5, s11
	s_andn2_b32 exec_lo, exec_lo, s11
	s_cbranch_execz .LBB0_49
.LBB0_53:                               ;   Parent Loop BB0_11 Depth=1
                                        ;     Parent Loop BB0_50 Depth=2
                                        ; =>    This Loop Header: Depth=3
                                        ;         Child Loop BB0_55 Depth 4
	s_and_saveexec_b32 s12, s2
	s_cbranch_execz .LBB0_52
; %bb.54:                               ;   in Loop: Header=BB0_53 Depth=3
	global_load_ushort v27, v[14:15], off offset:12
	v_lshl_add_u32 v10, v25, 5, v33
	v_mov_b32_e32 v47, v42
	v_mov_b32_e32 v48, v34
	s_mov_b32 s13, 0
	ds_read_b128 v[6:9], v10
	ds_read_b128 v[10:13], v10 offset:16
	s_waitcnt vmcnt(0)
	v_and_b32_e32 v46, 0xffff, v27
	v_mov_b32_e32 v28, v1
	v_mov_b32_e32 v27, v0
	v_lshlrev_b32_e32 v49, 3, v46
	v_lshlrev_b32_e32 v50, 5, v46
	.p2align	6
.LBB0_55:                               ;   Parent Loop BB0_11 Depth=1
                                        ;     Parent Loop BB0_50 Depth=2
                                        ;       Parent Loop BB0_53 Depth=3
                                        ; =>      This Inner Loop Header: Depth=4
	ds_read_b128 v[51:54], v47
	ds_read_b128 v[55:58], v47 offset:16
	v_add_co_u32 v27, s5, v27, v46
	v_add_co_ci_u32_e64 v28, null, 0, v28, s5
	v_add_nc_u32_e32 v47, v47, v50
	v_cmp_lt_u64_e64 s5, 2, v[27:28]
	s_or_b32 s13, s5, s13
	s_waitcnt lgkmcnt(1)
	v_fma_f64 v[51:52], v[6:7], v[51:52], 0
	v_fma_f64 v[51:52], v[8:9], v[53:54], v[51:52]
	s_waitcnt lgkmcnt(0)
	v_fma_f64 v[51:52], v[10:11], v[55:56], v[51:52]
	v_fma_f64 v[51:52], v[12:13], v[57:58], v[51:52]
	ds_write_b64 v48, v[51:52]
	v_add_nc_u32_e32 v48, v48, v49
	s_andn2_b32 exec_lo, exec_lo, s13
	s_cbranch_execnz .LBB0_55
	s_branch .LBB0_52
.LBB0_56:                               ;   in Loop: Header=BB0_11 Depth=1
	s_or_b32 exec_lo, exec_lo, s6
	s_waitcnt lgkmcnt(0)
	s_barrier
	buffer_gl0_inv
	s_and_saveexec_b32 s6, s1
	s_cbranch_execz .LBB0_65
; %bb.57:                               ;   in Loop: Header=BB0_11 Depth=1
	global_load_ushort v6, v[14:15], off offset:16
	v_mov_b32_e32 v24, v3
	v_mov_b32_e32 v30, v35
	;; [unrolled: 1-line block ×4, first 2 shown]
	s_mov_b32 s7, 0
	s_waitcnt vmcnt(0)
	v_and_b32_e32 v29, 0xffff, v6
	v_mul_u32_u24_e32 v32, 0x48, v29
	v_mul_u32_u24_e32 v33, 0x60, v29
	s_branch .LBB0_59
.LBB0_58:                               ;   in Loop: Header=BB0_59 Depth=2
	s_or_b32 exec_lo, exec_lo, s10
	v_add_co_u32 v23, s5, v23, v29
	v_add_co_ci_u32_e64 v24, null, 0, v24, s5
	v_add_nc_u32_e32 v31, v31, v32
	v_add_nc_u32_e32 v30, v30, v33
	v_cmp_lt_u64_e64 s5, 3, v[23:24]
	s_or_b32 s7, s5, s7
	s_andn2_b32 exec_lo, exec_lo, s7
	s_cbranch_execz .LBB0_65
.LBB0_59:                               ;   Parent Loop BB0_11 Depth=1
                                        ; =>  This Loop Header: Depth=2
                                        ;       Child Loop BB0_62 Depth 3
                                        ;         Child Loop BB0_64 Depth 4
	s_and_saveexec_b32 s10, vcc_lo
	s_cbranch_execz .LBB0_58
; %bb.60:                               ;   in Loop: Header=BB0_59 Depth=2
	global_load_ushort v6, v[14:15], off offset:14
	v_mov_b32_e32 v26, v5
	v_mov_b32_e32 v45, v31
	;; [unrolled: 1-line block ×3, first 2 shown]
	s_mov_b32 s11, 0
	s_waitcnt vmcnt(0)
	v_and_b32_e32 v34, 0xffff, v6
	v_mul_u32_u24_e32 v46, 24, v34
	s_branch .LBB0_62
.LBB0_61:                               ;   in Loop: Header=BB0_62 Depth=3
	s_or_b32 exec_lo, exec_lo, s12
	v_add_co_u32 v25, s5, v25, v34
	v_add_co_ci_u32_e64 v26, null, 0, v26, s5
	v_add_nc_u32_e32 v45, v45, v46
	v_cmp_lt_u64_e64 s5, 2, v[25:26]
	s_or_b32 s11, s5, s11
	s_andn2_b32 exec_lo, exec_lo, s11
	s_cbranch_execz .LBB0_58
.LBB0_62:                               ;   Parent Loop BB0_11 Depth=1
                                        ;     Parent Loop BB0_59 Depth=2
                                        ; =>    This Loop Header: Depth=3
                                        ;         Child Loop BB0_64 Depth 4
	s_and_saveexec_b32 s12, s2
	s_cbranch_execz .LBB0_61
; %bb.63:                               ;   in Loop: Header=BB0_62 Depth=3
	global_load_ushort v27, v[14:15], off offset:12
	v_lshlrev_b32_e32 v10, 5, v25
	v_mov_b32_e32 v48, 0
	s_mov_b32 s13, 0
	ds_read_b128 v[6:9], v10 offset:1120
	ds_read_b128 v[10:13], v10 offset:1136
	s_waitcnt vmcnt(0)
	v_and_b32_e32 v47, 0xffff, v27
	v_mov_b32_e32 v28, v1
	v_mov_b32_e32 v27, v0
	v_lshlrev_b32_e32 v49, 3, v47
	.p2align	6
.LBB0_64:                               ;   Parent Loop BB0_11 Depth=1
                                        ;     Parent Loop BB0_59 Depth=2
                                        ;       Parent Loop BB0_62 Depth=3
                                        ; =>      This Inner Loop Header: Depth=4
	v_add_nc_u32_e32 v56, v30, v48
	v_add_co_u32 v27, s5, v27, v47
	v_add_co_ci_u32_e64 v28, null, 0, v28, s5
	ds_read2_b64 v[50:53], v56 offset1:3
	v_cmp_lt_u64_e64 s5, 2, v[27:28]
	s_or_b32 s13, s5, s13
	s_waitcnt lgkmcnt(0)
	v_fma_f64 v[50:51], v[50:51], v[6:7], 0
	v_fma_f64 v[54:55], v[52:53], v[8:9], v[50:51]
	ds_read2_b64 v[50:53], v56 offset0:6 offset1:9
	s_waitcnt lgkmcnt(0)
	v_fma_f64 v[50:51], v[50:51], v[10:11], v[54:55]
	v_fma_f64 v[50:51], v[52:53], v[12:13], v[50:51]
	v_add_nc_u32_e32 v52, v45, v48
	v_add_nc_u32_e32 v48, v48, v49
	ds_write_b64 v52, v[50:51]
	s_andn2_b32 exec_lo, exec_lo, s13
	s_cbranch_execnz .LBB0_64
	s_branch .LBB0_61
.LBB0_65:                               ;   in Loop: Header=BB0_11 Depth=1
	s_or_b32 exec_lo, exec_lo, s6
	s_waitcnt lgkmcnt(0)
	s_barrier
	buffer_gl0_inv
	s_and_saveexec_b32 s7, s0
	s_cbranch_execz .LBB0_10
; %bb.66:                               ;   in Loop: Header=BB0_11 Depth=1
	global_load_ushort v6, v[14:15], off offset:16
	v_mov_b32_e32 v24, v22
	v_mov_b32_e32 v26, v3
	;; [unrolled: 1-line block ×4, first 2 shown]
	s_mov_b32 s10, 0
	s_waitcnt vmcnt(0)
	v_and_b32_e32 v45, 0xffff, v6
	v_mul_hi_u32_u24_e32 v46, 0x48, v45
	v_mul_u32_u24_e32 v47, 0x48, v45
	s_branch .LBB0_68
.LBB0_67:                               ;   in Loop: Header=BB0_68 Depth=2
	s_or_b32 exec_lo, exec_lo, s11
	v_add_co_u32 v25, s5, v25, v45
	v_add_co_ci_u32_e64 v26, null, 0, v26, s5
	v_add_co_u32 v23, s6, v23, v47
	v_add_co_ci_u32_e64 v24, null, v24, v46, s6
	v_cmp_lt_u64_e64 s5, 2, v[25:26]
	s_or_b32 s10, s5, s10
	s_andn2_b32 exec_lo, exec_lo, s10
	s_cbranch_execz .LBB0_10
.LBB0_68:                               ;   Parent Loop BB0_11 Depth=1
                                        ; =>  This Loop Header: Depth=2
                                        ;       Child Loop BB0_71 Depth 3
                                        ;         Child Loop BB0_73 Depth 4
	s_and_saveexec_b32 s11, vcc_lo
	s_cbranch_execz .LBB0_67
; %bb.69:                               ;   in Loop: Header=BB0_68 Depth=2
	global_load_ushort v6, v[14:15], off offset:14
	v_mov_b32_e32 v28, v24
	v_mov_b32_e32 v30, v5
	v_lshl_add_u32 v49, v25, 5, 0x460
	v_mov_b32_e32 v50, v44
	v_mov_b32_e32 v27, v23
	;; [unrolled: 1-line block ×3, first 2 shown]
	s_mov_b32 s12, 0
	s_waitcnt vmcnt(0)
	v_and_b32_e32 v48, 0xffff, v6
	v_mul_hi_u32_u24_e32 v51, 24, v48
	v_mul_u32_u24_e32 v52, 24, v48
	s_branch .LBB0_71
.LBB0_70:                               ;   in Loop: Header=BB0_71 Depth=3
	s_or_b32 exec_lo, exec_lo, s13
	v_add_co_u32 v29, s5, v29, v48
	v_add_co_ci_u32_e64 v30, null, 0, v30, s5
	v_add_co_u32 v27, s6, v27, v52
	v_add_co_ci_u32_e64 v28, null, v28, v51, s6
	v_cmp_lt_u64_e64 s5, 2, v[29:30]
	v_add_nc_u32_e32 v50, v50, v52
	s_or_b32 s12, s5, s12
	s_andn2_b32 exec_lo, exec_lo, s12
	s_cbranch_execz .LBB0_67
.LBB0_71:                               ;   Parent Loop BB0_11 Depth=1
                                        ;     Parent Loop BB0_68 Depth=2
                                        ; =>    This Loop Header: Depth=3
                                        ;         Child Loop BB0_73 Depth 4
	s_and_saveexec_b32 s13, s2
	s_cbranch_execz .LBB0_70
; %bb.72:                               ;   in Loop: Header=BB0_71 Depth=3
	global_load_ushort v31, v[14:15], off offset:12
	ds_read_b128 v[6:9], v49
	ds_read_b128 v[10:13], v49 offset:16
	v_mov_b32_e32 v34, v1
	v_mov_b32_e32 v54, v50
	;; [unrolled: 1-line block ×3, first 2 shown]
	s_mov_b32 s14, 0
	s_waitcnt vmcnt(0)
	v_and_b32_e32 v53, 0xffff, v31
	v_mov_b32_e32 v32, v28
	v_mov_b32_e32 v31, v27
	v_lshlrev_b32_e32 v55, 3, v53
	.p2align	6
.LBB0_73:                               ;   Parent Loop BB0_11 Depth=1
                                        ;     Parent Loop BB0_68 Depth=2
                                        ;       Parent Loop BB0_71 Depth=3
                                        ; =>      This Inner Loop Header: Depth=4
	ds_read2_b64 v[56:59], v54 offset1:9
	v_add_co_u32 v33, s5, v33, v53
	v_add_co_ci_u32_e64 v34, null, 0, v34, s5
	v_cmp_lt_u64_e64 s5, 2, v[33:34]
	s_or_b32 s14, s5, s14
	s_waitcnt lgkmcnt(0)
	v_fma_f64 v[56:57], v[56:57], v[6:7], 0
	v_fma_f64 v[60:61], v[58:59], v[8:9], v[56:57]
	ds_read2_b64 v[56:59], v54 offset0:18 offset1:27
	v_add_nc_u32_e32 v54, v54, v55
	s_waitcnt lgkmcnt(0)
	v_fma_f64 v[56:57], v[56:57], v[10:11], v[60:61]
	v_fma_f64 v[56:57], v[58:59], v[12:13], v[56:57]
	global_store_dwordx2 v[31:32], v[56:57], off
	v_add_co_u32 v31, s6, v31, v55
	v_add_co_ci_u32_e64 v32, null, 0, v32, s6
	s_andn2_b32 exec_lo, exec_lo, s14
	s_cbranch_execnz .LBB0_73
	s_branch .LBB0_70
.LBB0_74:
	s_endpgm
	.section	.rodata,"a",@progbits
	.p2align	6, 0x0
	.amdhsa_kernel _ZN8rajaperf4apps15MassVec3DPALoopILm64EEEvPdS2_S2_S2_
		.amdhsa_group_segment_fixed_size 1216
		.amdhsa_private_segment_fixed_size 0
		.amdhsa_kernarg_size 288
		.amdhsa_user_sgpr_count 6
		.amdhsa_user_sgpr_private_segment_buffer 1
		.amdhsa_user_sgpr_dispatch_ptr 0
		.amdhsa_user_sgpr_queue_ptr 0
		.amdhsa_user_sgpr_kernarg_segment_ptr 1
		.amdhsa_user_sgpr_dispatch_id 0
		.amdhsa_user_sgpr_flat_scratch_init 0
		.amdhsa_user_sgpr_private_segment_size 0
		.amdhsa_wavefront_size32 1
		.amdhsa_uses_dynamic_stack 0
		.amdhsa_system_sgpr_private_segment_wavefront_offset 0
		.amdhsa_system_sgpr_workgroup_id_x 1
		.amdhsa_system_sgpr_workgroup_id_y 0
		.amdhsa_system_sgpr_workgroup_id_z 0
		.amdhsa_system_sgpr_workgroup_info 0
		.amdhsa_system_vgpr_workitem_id 2
		.amdhsa_next_free_vgpr 62
		.amdhsa_next_free_sgpr 21
		.amdhsa_reserve_vcc 1
		.amdhsa_reserve_flat_scratch 0
		.amdhsa_float_round_mode_32 0
		.amdhsa_float_round_mode_16_64 0
		.amdhsa_float_denorm_mode_32 3
		.amdhsa_float_denorm_mode_16_64 3
		.amdhsa_dx10_clamp 1
		.amdhsa_ieee_mode 1
		.amdhsa_fp16_overflow 0
		.amdhsa_workgroup_processor_mode 1
		.amdhsa_memory_ordered 1
		.amdhsa_forward_progress 1
		.amdhsa_shared_vgpr_count 0
		.amdhsa_exception_fp_ieee_invalid_op 0
		.amdhsa_exception_fp_denorm_src 0
		.amdhsa_exception_fp_ieee_div_zero 0
		.amdhsa_exception_fp_ieee_overflow 0
		.amdhsa_exception_fp_ieee_underflow 0
		.amdhsa_exception_fp_ieee_inexact 0
		.amdhsa_exception_int_div_zero 0
	.end_amdhsa_kernel
	.section	.text._ZN8rajaperf4apps15MassVec3DPALoopILm64EEEvPdS2_S2_S2_,"axG",@progbits,_ZN8rajaperf4apps15MassVec3DPALoopILm64EEEvPdS2_S2_S2_,comdat
.Lfunc_end0:
	.size	_ZN8rajaperf4apps15MassVec3DPALoopILm64EEEvPdS2_S2_S2_, .Lfunc_end0-_ZN8rajaperf4apps15MassVec3DPALoopILm64EEEvPdS2_S2_S2_
                                        ; -- End function
	.set _ZN8rajaperf4apps15MassVec3DPALoopILm64EEEvPdS2_S2_S2_.num_vgpr, 62
	.set _ZN8rajaperf4apps15MassVec3DPALoopILm64EEEvPdS2_S2_S2_.num_agpr, 0
	.set _ZN8rajaperf4apps15MassVec3DPALoopILm64EEEvPdS2_S2_S2_.numbered_sgpr, 21
	.set _ZN8rajaperf4apps15MassVec3DPALoopILm64EEEvPdS2_S2_S2_.num_named_barrier, 0
	.set _ZN8rajaperf4apps15MassVec3DPALoopILm64EEEvPdS2_S2_S2_.private_seg_size, 0
	.set _ZN8rajaperf4apps15MassVec3DPALoopILm64EEEvPdS2_S2_S2_.uses_vcc, 1
	.set _ZN8rajaperf4apps15MassVec3DPALoopILm64EEEvPdS2_S2_S2_.uses_flat_scratch, 0
	.set _ZN8rajaperf4apps15MassVec3DPALoopILm64EEEvPdS2_S2_S2_.has_dyn_sized_stack, 0
	.set _ZN8rajaperf4apps15MassVec3DPALoopILm64EEEvPdS2_S2_S2_.has_recursion, 0
	.set _ZN8rajaperf4apps15MassVec3DPALoopILm64EEEvPdS2_S2_S2_.has_indirect_call, 0
	.section	.AMDGPU.csdata,"",@progbits
; Kernel info:
; codeLenInByte = 4288
; TotalNumSgprs: 23
; NumVgprs: 62
; ScratchSize: 0
; MemoryBound: 0
; FloatMode: 240
; IeeeMode: 1
; LDSByteSize: 1216 bytes/workgroup (compile time only)
; SGPRBlocks: 0
; VGPRBlocks: 7
; NumSGPRsForWavesPerEU: 23
; NumVGPRsForWavesPerEU: 62
; Occupancy: 16
; WaveLimiterHint : 0
; COMPUTE_PGM_RSRC2:SCRATCH_EN: 0
; COMPUTE_PGM_RSRC2:USER_SGPR: 6
; COMPUTE_PGM_RSRC2:TRAP_HANDLER: 0
; COMPUTE_PGM_RSRC2:TGID_X_EN: 1
; COMPUTE_PGM_RSRC2:TGID_Y_EN: 0
; COMPUTE_PGM_RSRC2:TGID_Z_EN: 0
; COMPUTE_PGM_RSRC2:TIDIG_COMP_CNT: 2
	.section	.text._ZN4RAJA34launch_new_reduce_global_fcn_fixedIZN8rajaperf4apps11MASSVEC3DPA17runHipVariantImplILm64ELm0EEEvNS1_9VariantIDEEUlNS_14LaunchContextTINS_3hip33LaunchContextIndicesAndDimsPolicyINS7_14IndicesAndDimsILb0ELb0ELb0ELb0EEEEEEEE_Li64ENS_4expt15ForallParamPackIJEEEEEvT_T1_,"axG",@progbits,_ZN4RAJA34launch_new_reduce_global_fcn_fixedIZN8rajaperf4apps11MASSVEC3DPA17runHipVariantImplILm64ELm0EEEvNS1_9VariantIDEEUlNS_14LaunchContextTINS_3hip33LaunchContextIndicesAndDimsPolicyINS7_14IndicesAndDimsILb0ELb0ELb0ELb0EEEEEEEE_Li64ENS_4expt15ForallParamPackIJEEEEEvT_T1_,comdat
	.protected	_ZN4RAJA34launch_new_reduce_global_fcn_fixedIZN8rajaperf4apps11MASSVEC3DPA17runHipVariantImplILm64ELm0EEEvNS1_9VariantIDEEUlNS_14LaunchContextTINS_3hip33LaunchContextIndicesAndDimsPolicyINS7_14IndicesAndDimsILb0ELb0ELb0ELb0EEEEEEEE_Li64ENS_4expt15ForallParamPackIJEEEEEvT_T1_ ; -- Begin function _ZN4RAJA34launch_new_reduce_global_fcn_fixedIZN8rajaperf4apps11MASSVEC3DPA17runHipVariantImplILm64ELm0EEEvNS1_9VariantIDEEUlNS_14LaunchContextTINS_3hip33LaunchContextIndicesAndDimsPolicyINS7_14IndicesAndDimsILb0ELb0ELb0ELb0EEEEEEEE_Li64ENS_4expt15ForallParamPackIJEEEEEvT_T1_
	.globl	_ZN4RAJA34launch_new_reduce_global_fcn_fixedIZN8rajaperf4apps11MASSVEC3DPA17runHipVariantImplILm64ELm0EEEvNS1_9VariantIDEEUlNS_14LaunchContextTINS_3hip33LaunchContextIndicesAndDimsPolicyINS7_14IndicesAndDimsILb0ELb0ELb0ELb0EEEEEEEE_Li64ENS_4expt15ForallParamPackIJEEEEEvT_T1_
	.p2align	8
	.type	_ZN4RAJA34launch_new_reduce_global_fcn_fixedIZN8rajaperf4apps11MASSVEC3DPA17runHipVariantImplILm64ELm0EEEvNS1_9VariantIDEEUlNS_14LaunchContextTINS_3hip33LaunchContextIndicesAndDimsPolicyINS7_14IndicesAndDimsILb0ELb0ELb0ELb0EEEEEEEE_Li64ENS_4expt15ForallParamPackIJEEEEEvT_T1_,@function
_ZN4RAJA34launch_new_reduce_global_fcn_fixedIZN8rajaperf4apps11MASSVEC3DPA17runHipVariantImplILm64ELm0EEEvNS1_9VariantIDEEUlNS_14LaunchContextTINS_3hip33LaunchContextIndicesAndDimsPolicyINS7_14IndicesAndDimsILb0ELb0ELb0ELb0EEEEEEEE_Li64ENS_4expt15ForallParamPackIJEEEEEvT_T1_: ; @_ZN4RAJA34launch_new_reduce_global_fcn_fixedIZN8rajaperf4apps11MASSVEC3DPA17runHipVariantImplILm64ELm0EEEvNS1_9VariantIDEEUlNS_14LaunchContextTINS_3hip33LaunchContextIndicesAndDimsPolicyINS7_14IndicesAndDimsILb0ELb0ELb0ELb0EEEEEEEE_Li64ENS_4expt15ForallParamPackIJEEEEEvT_T1_
; %bb.0:
	s_load_dwordx8 s[8:15], s[4:5], 0x0
	s_mov_b32 s0, s7
	s_mov_b32 s7, 0
	s_waitcnt lgkmcnt(0)
	v_cmp_le_i64_e64 s1, s[8:9], s[6:7]
	s_and_b32 vcc_lo, exec_lo, s1
	s_cbranch_vccnz .LBB1_77
; %bb.1:
	s_clause 0x1
	s_load_dword s1, s[4:5], 0x40
	s_load_dwordx2 s[8:9], s[4:5], 0x20
	v_mov_b32_e32 v4, v1
	v_lshlrev_b32_e32 v17, 3, v0
	s_add_u32 s16, s4, 48
	s_addc_u32 s17, s5, 0
	v_lshlrev_b32_e32 v18, 5, v4
	s_waitcnt lgkmcnt(0)
	s_and_b32 s18, s1, 0xffff
	s_mov_b32 s1, exec_lo
	v_cmpx_ne_u32_e32 0, v2
	s_xor_b32 s1, exec_lo, s1
                                        ; implicit-def: $vgpr19
                                        ; implicit-def: $vgpr20
; %bb.2:
	v_mov_b32_e32 v5, 0
	v_mov_b32_e32 v1, v5
	v_mov_b32_e32 v19, v5
	v_mov_b32_e32 v20, v5
; %bb.3:
	s_andn2_saveexec_b32 s4, s1
	s_cbranch_execz .LBB1_12
; %bb.4:
	s_load_dword s3, s[16:17], 0xc
	v_add_co_u32 v6, s5, v18, v17
	v_mov_b32_e32 v5, 0
	v_add_co_ci_u32_e64 v7, null, 0, 0, s5
	v_mul_u32_u24_e32 v8, 24, v0
	v_lshlrev_b32_e32 v9, 3, v4
	v_add_co_u32 v6, vcc_lo, s10, v6
	v_cmp_gt_u32_e64 s1, 3, v4
	v_cmp_gt_u32_e64 s2, 4, v0
	v_add3_u32 v3, v18, v17, 0x460
	v_mov_b32_e32 v1, v5
	v_mov_b32_e32 v20, v5
	;; [unrolled: 1-line block ×3, first 2 shown]
	v_add_co_ci_u32_e64 v7, null, s11, v7, vcc_lo
	v_add3_u32 v16, v8, v9, 0x400
	s_waitcnt lgkmcnt(0)
	s_lshr_b32 s5, s3, 16
	s_cmp_lg_u32 s18, 0
	s_cselect_b32 s10, -1, 0
	s_lshl_b32 s11, s5, 5
	s_lshl_b32 s19, s5, 3
	s_branch .LBB1_6
.LBB1_5:                                ;   in Loop: Header=BB1_6 Depth=1
	s_inst_prefetch 0x2
	s_or_b32 exec_lo, exec_lo, s20
	s_andn2_b32 vcc_lo, exec_lo, s10
	s_cbranch_vccz .LBB1_12
.LBB1_6:                                ; =>This Loop Header: Depth=1
                                        ;     Child Loop BB1_9 Depth 2
                                        ;       Child Loop BB1_11 Depth 3
	s_and_saveexec_b32 s20, s1
	s_cbranch_execz .LBB1_5
; %bb.7:                                ;   in Loop: Header=BB1_6 Depth=1
	s_load_dword s3, s[16:17], 0x0
	v_mov_b32_e32 v11, v5
	v_mov_b32_e32 v24, v16
	;; [unrolled: 1-line block ×4, first 2 shown]
	s_mov_b32 s21, 0
	s_waitcnt lgkmcnt(0)
	s_cmp_lt_u32 s6, s3
	s_cselect_b32 s3, 12, 18
	s_add_u32 s22, s16, s3
	s_addc_u32 s23, s17, 0
	global_load_ushort v8, v5, s[22:23]
	s_waitcnt vmcnt(0)
	v_and_b32_e32 v21, 0xffff, v8
	v_mov_b32_e32 v9, v7
	v_mov_b32_e32 v8, v6
	v_mul_lo_u32 v23, v21, 24
	v_lshlrev_b32_e32 v22, 3, v21
	s_inst_prefetch 0x1
	s_branch .LBB1_9
	.p2align	6
.LBB1_8:                                ;   in Loop: Header=BB1_9 Depth=2
	s_or_b32 exec_lo, exec_lo, s3
	v_add_co_u32 v10, vcc_lo, v10, s5
	v_add_co_ci_u32_e64 v11, null, 0, v11, vcc_lo
	v_add_co_u32 v8, s3, v8, s11
	v_add_co_ci_u32_e64 v9, null, 0, v9, s3
	v_cmp_lt_u64_e32 vcc_lo, 2, v[10:11]
	v_add_nc_u32_e32 v25, s11, v25
	v_add_nc_u32_e32 v24, s19, v24
	s_or_b32 s21, vcc_lo, s21
	s_andn2_b32 exec_lo, exec_lo, s21
	s_cbranch_execz .LBB1_5
.LBB1_9:                                ;   Parent Loop BB1_6 Depth=1
                                        ; =>  This Loop Header: Depth=2
                                        ;       Child Loop BB1_11 Depth 3
	s_and_saveexec_b32 s3, s2
	s_cbranch_execz .LBB1_8
; %bb.10:                               ;   in Loop: Header=BB1_9 Depth=2
	v_mov_b32_e32 v13, v9
	v_mov_b32_e32 v15, v1
	;; [unrolled: 1-line block ×6, first 2 shown]
	s_mov_b32 s22, 0
	.p2align	6
.LBB1_11:                               ;   Parent Loop BB1_6 Depth=1
                                        ;     Parent Loop BB1_9 Depth=2
                                        ; =>    This Inner Loop Header: Depth=3
	global_load_dwordx2 v[28:29], v[12:13], off
	v_add_co_u32 v14, vcc_lo, v14, v21
	v_add_co_ci_u32_e64 v15, null, 0, v15, vcc_lo
	v_add_co_u32 v12, vcc_lo, v12, v22
	v_add_co_ci_u32_e64 v13, null, 0, v13, vcc_lo
	v_cmp_lt_u64_e32 vcc_lo, 3, v[14:15]
	s_waitcnt vmcnt(0)
	ds_write_b64 v26, v[28:29]
	ds_write_b64 v27, v[28:29]
	v_add_nc_u32_e32 v27, v27, v22
	v_add_nc_u32_e32 v26, v26, v23
	s_or_b32 s22, vcc_lo, s22
	s_andn2_b32 exec_lo, exec_lo, s22
	s_cbranch_execnz .LBB1_11
	s_branch .LBB1_8
.LBB1_12:
	s_or_b32 exec_lo, exec_lo, s4
	v_mul_hi_u32_u24_e32 v7, 0x48, v2
	v_mul_u32_u24_e32 v6, 0x48, v2
	v_lshlrev_b32_e32 v12, 7, v2
	s_lshl_b64 s[10:11], s[6:7], 9
	v_mul_lo_u32 v9, v4, 24
	v_lshlrev_b32_e32 v10, 3, v0
	v_mad_u64_u32 v[6:7], null, 0x288, s6, v[6:7]
	v_lshlrev_b32_e32 v11, 5, v4
	v_mad_u64_u32 v[14:15], null, v0, 24, 0x400
	v_mad_u32_u24 v33, 0x60, v2, v10
	v_add_nc_u32_e32 v21, v9, v10
	v_add_nc_u32_e32 v36, v11, v10
	v_mad_u64_u32 v[6:7], null, v4, 24, v[6:7]
	v_mov_b32_e32 v3, 0
	v_mad_u32_u24 v35, 0x48, v2, v21
	v_add_nc_u32_e32 v37, v36, v12
	v_cmp_gt_u32_e64 s1, 4, v2
	v_cmp_gt_u32_e64 s2, 3, v4
	;; [unrolled: 1-line block ×3, first 2 shown]
	v_mad_u64_u32 v[7:8], null, v5, 24, v[7:8]
	v_add_co_u32 v8, s7, s10, v12
	v_add_co_ci_u32_e64 v13, null, s11, 0, s7
	v_add_co_u32 v6, s7, v6, v17
	v_add_co_ci_u32_e64 v7, null, v7, v19, s7
	v_cmp_gt_u32_e64 s4, 4, v0
	v_add_co_u32 v15, s7, s12, v6
	v_add_co_ci_u32_e64 v16, null, s13, v7, s7
	v_add_co_u32 v8, s7, v8, v18
	v_add_co_ci_u32_e64 v10, null, v13, v20, s7
	v_cmp_gt_u32_e64 s5, 4, v4
	v_add_co_u32 v8, s7, v8, v17
	v_add_co_ci_u32_e64 v10, null, v10, v19, s7
	v_add3_u32 v34, v33, v11, 0x200
	v_add_co_u32 v17, s7, s14, v8
	v_add_co_ci_u32_e64 v18, null, s15, v10, s7
	v_add_co_u32 v19, s7, s8, v6
	v_add_nc_u32_e32 v38, 0x200, v33
	v_add_nc_u32_e32 v39, 0x200, v37
	;; [unrolled: 1-line block ×3, first 2 shown]
	v_lshl_add_u32 v41, v0, 5, 0x460
	v_add_nc_u32_e32 v42, 0x200, v35
	v_add_co_ci_u32_e64 v20, null, s9, v7, s7
	v_add_nc_u32_e32 v43, 0x200, v21
	s_mul_i32 s19, s18, 0x48
	s_mul_i32 s9, s18, 0x60
	s_lshl_b32 s12, s18, 7
	s_mov_b64 s[10:11], 0
	v_cmp_gt_u32_e32 vcc_lo, 3, v2
	s_branch .LBB1_14
.LBB1_13:                               ;   in Loop: Header=BB1_14 Depth=1
	s_or_b32 exec_lo, exec_lo, s13
	v_add_co_u32 v15, s7, 0xd8, v15
	v_add_co_ci_u32_e64 v16, null, 0, v16, s7
	v_add_co_u32 v19, s7, 0xd8, v19
	s_add_u32 s10, s10, 1
	v_add_co_ci_u32_e64 v20, null, 0, v20, s7
	s_addc_u32 s11, s11, 0
	s_waitcnt_vscnt null, 0x0
	s_cmp_lg_u64 s[10:11], 3
	s_barrier
	buffer_gl0_inv
	s_cbranch_scc0 .LBB1_77
.LBB1_14:                               ; =>This Loop Header: Depth=1
                                        ;     Child Loop BB1_17 Depth 2
                                        ;       Child Loop BB1_20 Depth 3
                                        ;         Child Loop BB1_22 Depth 4
                                        ;     Child Loop BB1_26 Depth 2
                                        ;       Child Loop BB1_29 Depth 3
                                        ;         Child Loop BB1_31 Depth 4
                                        ;     Child Loop BB1_35 Depth 2
                                        ;       Child Loop BB1_38 Depth 3
                                        ;         Child Loop BB1_40 Depth 4
                                        ;     Child Loop BB1_44 Depth 2
                                        ;       Child Loop BB1_47 Depth 3
                                        ;         Child Loop BB1_49 Depth 4
                                        ;     Child Loop BB1_53 Depth 2
                                        ;       Child Loop BB1_56 Depth 3
                                        ;         Child Loop BB1_58 Depth 4
                                        ;     Child Loop BB1_62 Depth 2
                                        ;       Child Loop BB1_65 Depth 3
                                        ;         Child Loop BB1_67 Depth 4
                                        ;     Child Loop BB1_71 Depth 2
                                        ;       Child Loop BB1_74 Depth 3
                                        ;         Child Loop BB1_76 Depth 4
	s_and_saveexec_b32 s13, vcc_lo
	s_cbranch_execz .LBB1_23
; %bb.15:                               ;   in Loop: Header=BB1_14 Depth=1
	s_load_dword s7, s[16:17], 0x4
	v_mov_b32_e32 v9, v3
	v_mov_b32_e32 v27, v35
	;; [unrolled: 1-line block ×3, first 2 shown]
	s_waitcnt lgkmcnt(0)
	s_cmp_lt_u32 s0, s7
	s_cselect_b32 s7, 14, 20
	s_add_u32 s14, s16, s7
	s_addc_u32 s15, s17, 0
	global_load_ushort v6, v3, s[14:15]
	s_mov_b32 s14, 0
	s_waitcnt vmcnt(0)
	v_and_b32_e32 v25, 0xffff, v6
	v_mov_b32_e32 v6, v15
	v_mov_b32_e32 v7, v16
	v_mul_lo_u32 v26, v25, 24
	s_branch .LBB1_17
.LBB1_16:                               ;   in Loop: Header=BB1_17 Depth=2
	s_inst_prefetch 0x2
	s_or_b32 exec_lo, exec_lo, s15
	v_add_co_u32 v8, s7, v8, s18
	v_add_co_ci_u32_e64 v9, null, 0, v9, s7
	v_add_co_u32 v6, s8, v6, s19
	v_add_co_ci_u32_e64 v7, null, 0, v7, s8
	v_cmp_lt_u64_e64 s7, 2, v[8:9]
	v_add_nc_u32_e32 v27, s19, v27
	s_or_b32 s14, s7, s14
	s_andn2_b32 exec_lo, exec_lo, s14
	s_cbranch_execz .LBB1_23
.LBB1_17:                               ;   Parent Loop BB1_14 Depth=1
                                        ; =>  This Loop Header: Depth=2
                                        ;       Child Loop BB1_20 Depth 3
                                        ;         Child Loop BB1_22 Depth 4
	s_and_saveexec_b32 s15, s2
	s_cbranch_execz .LBB1_16
; %bb.18:                               ;   in Loop: Header=BB1_17 Depth=2
	s_load_dword s7, s[16:17], 0x0
	v_mov_b32_e32 v13, v5
	v_mov_b32_e32 v29, v27
	;; [unrolled: 1-line block ×3, first 2 shown]
	s_waitcnt lgkmcnt(0)
	s_cmp_lt_u32 s6, s7
	s_cselect_b32 s7, 12, 18
	s_add_u32 s20, s16, s7
	s_addc_u32 s21, s17, 0
	global_load_ushort v10, v3, s[20:21]
	s_mov_b32 s20, 0
	s_waitcnt vmcnt(0)
	v_and_b32_e32 v28, 0xffff, v10
	v_mov_b32_e32 v11, v7
	v_mov_b32_e32 v10, v6
	v_lshlrev_b32_e32 v30, 3, v28
	s_inst_prefetch 0x1
	s_branch .LBB1_20
	.p2align	6
.LBB1_19:                               ;   in Loop: Header=BB1_20 Depth=3
	s_or_b32 exec_lo, exec_lo, s21
	v_add_co_u32 v12, s7, v12, v25
	v_add_co_ci_u32_e64 v13, null, 0, v13, s7
	v_add_co_u32 v10, s8, v10, v26
	v_add_co_ci_u32_e64 v11, null, 0, v11, s8
	v_cmp_lt_u64_e64 s7, 2, v[12:13]
	v_add_nc_u32_e32 v29, v29, v26
	s_or_b32 s20, s7, s20
	s_andn2_b32 exec_lo, exec_lo, s20
	s_cbranch_execz .LBB1_16
.LBB1_20:                               ;   Parent Loop BB1_14 Depth=1
                                        ;     Parent Loop BB1_17 Depth=2
                                        ; =>    This Loop Header: Depth=3
                                        ;         Child Loop BB1_22 Depth 4
	s_and_saveexec_b32 s21, s3
	s_cbranch_execz .LBB1_19
; %bb.21:                               ;   in Loop: Header=BB1_20 Depth=3
	v_mov_b32_e32 v22, v11
	v_mov_b32_e32 v24, v1
	;; [unrolled: 1-line block ×5, first 2 shown]
	s_mov_b32 s22, 0
	.p2align	6
.LBB1_22:                               ;   Parent Loop BB1_14 Depth=1
                                        ;     Parent Loop BB1_17 Depth=2
                                        ;       Parent Loop BB1_20 Depth=3
                                        ; =>      This Inner Loop Header: Depth=4
	global_load_dwordx2 v[44:45], v[21:22], off
	v_add_co_u32 v23, s7, v23, v28
	v_add_co_ci_u32_e64 v24, null, 0, v24, s7
	v_add_co_u32 v21, s7, v21, v30
	v_add_co_ci_u32_e64 v22, null, 0, v22, s7
	v_cmp_lt_u64_e64 s8, 2, v[23:24]
	s_or_b32 s22, s8, s22
	s_waitcnt vmcnt(0)
	ds_write_b64 v31, v[44:45]
	v_add_nc_u32_e32 v31, v31, v30
	s_andn2_b32 exec_lo, exec_lo, s22
	s_cbranch_execnz .LBB1_22
	s_branch .LBB1_19
.LBB1_23:                               ;   in Loop: Header=BB1_14 Depth=1
	s_or_b32 exec_lo, exec_lo, s13
	s_waitcnt lgkmcnt(0)
	s_barrier
	buffer_gl0_inv
	s_and_saveexec_b32 s8, vcc_lo
	s_cbranch_execz .LBB1_32
; %bb.24:                               ;   in Loop: Header=BB1_14 Depth=1
	s_load_dword s7, s[16:17], 0x4
	v_mov_b32_e32 v11, v3
	v_mov_b32_e32 v27, v34
	;; [unrolled: 1-line block ×3, first 2 shown]
	s_mov_b32 s13, 0
	s_waitcnt lgkmcnt(0)
	s_cmp_lt_u32 s0, s7
	s_cselect_b32 s7, 14, 20
	s_add_u32 s14, s16, s7
	s_addc_u32 s15, s17, 0
	global_load_ushort v6, v3, s[14:15]
	s_waitcnt vmcnt(0)
	v_and_b32_e32 v13, 0xffff, v6
	v_lshlrev_b32_e32 v28, 5, v13
	s_branch .LBB1_26
.LBB1_25:                               ;   in Loop: Header=BB1_26 Depth=2
	s_inst_prefetch 0x2
	s_or_b32 exec_lo, exec_lo, s14
	v_add_co_u32 v10, s7, v10, s18
	v_add_co_ci_u32_e64 v11, null, 0, v11, s7
	v_add_nc_u32_e32 v27, s9, v27
	v_cmp_lt_u64_e64 s7, 2, v[10:11]
	s_or_b32 s13, s7, s13
	s_andn2_b32 exec_lo, exec_lo, s13
	s_cbranch_execz .LBB1_32
.LBB1_26:                               ;   Parent Loop BB1_14 Depth=1
                                        ; =>  This Loop Header: Depth=2
                                        ;       Child Loop BB1_29 Depth 3
                                        ;         Child Loop BB1_31 Depth 4
	s_and_saveexec_b32 s14, s2
	s_cbranch_execz .LBB1_25
; %bb.27:                               ;   in Loop: Header=BB1_26 Depth=2
	s_load_dword s7, s[16:17], 0x0
	v_mul_lo_u32 v12, 0x48, v10
	v_mov_b32_e32 v22, v5
	v_mov_b32_e32 v32, v27
	;; [unrolled: 1-line block ×3, first 2 shown]
	s_mov_b32 s15, 0
	s_waitcnt lgkmcnt(0)
	s_cmp_lt_u32 s6, s7
	s_cselect_b32 s7, 12, 18
	s_add_u32 s20, s16, s7
	s_addc_u32 s21, s17, 0
	global_load_ushort v6, v3, s[20:21]
	s_waitcnt vmcnt(0)
	v_and_b32_e32 v29, 0xffff, v6
	v_mul_lo_u32 v30, v29, 24
	v_lshlrev_b32_e32 v31, 3, v29
	s_inst_prefetch 0x1
	s_branch .LBB1_29
	.p2align	6
.LBB1_28:                               ;   in Loop: Header=BB1_29 Depth=3
	s_or_b32 exec_lo, exec_lo, s20
	v_add_co_u32 v21, s7, v21, v13
	v_add_co_ci_u32_e64 v22, null, 0, v22, s7
	v_add_nc_u32_e32 v32, v32, v28
	v_cmp_lt_u64_e64 s7, 2, v[21:22]
	s_or_b32 s15, s7, s15
	s_andn2_b32 exec_lo, exec_lo, s15
	s_cbranch_execz .LBB1_25
.LBB1_29:                               ;   Parent Loop BB1_14 Depth=1
                                        ;     Parent Loop BB1_26 Depth=2
                                        ; =>    This Loop Header: Depth=3
                                        ;         Child Loop BB1_31 Depth 4
	s_and_saveexec_b32 s20, s4
	s_cbranch_execz .LBB1_28
; %bb.30:                               ;   in Loop: Header=BB1_29 Depth=3
	v_mad_u64_u32 v[23:24], null, v21, 24, v[12:13]
	v_mov_b32_e32 v26, v1
	v_mov_b32_e32 v44, v14
	;; [unrolled: 1-line block ×4, first 2 shown]
	s_mov_b32 s21, 0
	ds_read2_b64 v[6:9], v23 offset1:1
	ds_read_b64 v[23:24], v23 offset:16
	.p2align	6
.LBB1_31:                               ;   Parent Loop BB1_14 Depth=1
                                        ;     Parent Loop BB1_26 Depth=2
                                        ;       Parent Loop BB1_29 Depth=3
                                        ; =>      This Inner Loop Header: Depth=4
	ds_read2_b64 v[46:49], v44 offset1:1
	ds_read_b64 v[50:51], v44 offset:16
	v_add_co_u32 v25, s7, v25, v29
	v_add_co_ci_u32_e64 v26, null, 0, v26, s7
	v_add_nc_u32_e32 v44, v44, v30
	v_cmp_lt_u64_e64 s7, 3, v[25:26]
	s_or_b32 s21, s7, s21
	s_waitcnt lgkmcnt(1)
	v_fma_f64 v[46:47], v[6:7], v[46:47], 0
	v_fma_f64 v[46:47], v[8:9], v[48:49], v[46:47]
	s_waitcnt lgkmcnt(0)
	v_fma_f64 v[46:47], v[23:24], v[50:51], v[46:47]
	ds_write_b64 v45, v[46:47]
	v_add_nc_u32_e32 v45, v45, v31
	s_andn2_b32 exec_lo, exec_lo, s21
	s_cbranch_execnz .LBB1_31
	s_branch .LBB1_28
.LBB1_32:                               ;   in Loop: Header=BB1_14 Depth=1
	s_or_b32 exec_lo, exec_lo, s8
	s_waitcnt lgkmcnt(0)
	s_barrier
	buffer_gl0_inv
	s_and_saveexec_b32 s8, vcc_lo
	s_cbranch_execz .LBB1_41
; %bb.33:                               ;   in Loop: Header=BB1_14 Depth=1
	s_load_dword s7, s[16:17], 0x4
	v_mov_b32_e32 v11, v3
	v_mov_b32_e32 v26, v38
	;; [unrolled: 1-line block ×4, first 2 shown]
	s_mov_b32 s13, 0
	s_waitcnt lgkmcnt(0)
	s_cmp_lt_u32 s0, s7
	s_cselect_b32 s7, 14, 20
	s_add_u32 s14, s16, s7
	s_addc_u32 s15, s17, 0
	global_load_ushort v6, v3, s[14:15]
	s_waitcnt vmcnt(0)
	v_and_b32_e32 v25, 0xffff, v6
	v_lshlrev_b32_e32 v28, 5, v25
	s_branch .LBB1_35
.LBB1_34:                               ;   in Loop: Header=BB1_35 Depth=2
	s_inst_prefetch 0x2
	s_or_b32 exec_lo, exec_lo, s14
	v_add_co_u32 v10, s7, v10, s18
	v_add_co_ci_u32_e64 v11, null, 0, v11, s7
	v_add_nc_u32_e32 v27, s12, v27
	v_add_nc_u32_e32 v26, s9, v26
	v_cmp_lt_u64_e64 s7, 2, v[10:11]
	s_or_b32 s13, s7, s13
	s_andn2_b32 exec_lo, exec_lo, s13
	s_cbranch_execz .LBB1_41
.LBB1_35:                               ;   Parent Loop BB1_14 Depth=1
                                        ; =>  This Loop Header: Depth=2
                                        ;       Child Loop BB1_38 Depth 3
                                        ;         Child Loop BB1_40 Depth 4
	s_and_saveexec_b32 s14, s5
	s_cbranch_execz .LBB1_34
; %bb.36:                               ;   in Loop: Header=BB1_35 Depth=2
	s_load_dword s7, s[16:17], 0x0
	v_mov_b32_e32 v13, v5
	v_mov_b32_e32 v30, v27
	;; [unrolled: 1-line block ×3, first 2 shown]
	s_mov_b32 s15, 0
	s_waitcnt lgkmcnt(0)
	s_cmp_lt_u32 s6, s7
	s_cselect_b32 s7, 12, 18
	s_add_u32 s20, s16, s7
	s_addc_u32 s21, s17, 0
	global_load_ushort v6, v3, s[20:21]
	s_waitcnt vmcnt(0)
	v_and_b32_e32 v29, 0xffff, v6
	v_lshlrev_b32_e32 v31, 3, v29
	s_inst_prefetch 0x1
	s_branch .LBB1_38
	.p2align	6
.LBB1_37:                               ;   in Loop: Header=BB1_38 Depth=3
	s_or_b32 exec_lo, exec_lo, s20
	v_add_co_u32 v12, s7, v12, v25
	v_add_co_ci_u32_e64 v13, null, 0, v13, s7
	v_add_nc_u32_e32 v30, v30, v28
	v_cmp_lt_u64_e64 s7, 3, v[12:13]
	s_or_b32 s15, s7, s15
	s_andn2_b32 exec_lo, exec_lo, s15
	s_cbranch_execz .LBB1_34
.LBB1_38:                               ;   Parent Loop BB1_14 Depth=1
                                        ;     Parent Loop BB1_35 Depth=2
                                        ; =>    This Loop Header: Depth=3
                                        ;         Child Loop BB1_40 Depth 4
	s_and_saveexec_b32 s20, s4
	s_cbranch_execz .LBB1_37
; %bb.39:                               ;   in Loop: Header=BB1_38 Depth=3
	v_mul_lo_u32 v21, v12, 24
	v_mov_b32_e32 v24, v1
	v_mov_b32_e32 v32, 0
	;; [unrolled: 1-line block ×3, first 2 shown]
	s_mov_b32 s21, 0
	ds_read2_b64 v[6:9], v21 offset0:128 offset1:129
	ds_read_b64 v[21:22], v21 offset:1040
	.p2align	6
.LBB1_40:                               ;   Parent Loop BB1_14 Depth=1
                                        ;     Parent Loop BB1_35 Depth=2
                                        ;       Parent Loop BB1_38 Depth=3
                                        ; =>      This Inner Loop Header: Depth=4
	v_add_nc_u32_e32 v48, v26, v32
	v_add_co_u32 v23, s7, v23, v29
	v_add_co_ci_u32_e64 v24, null, 0, v24, s7
	ds_read2_b64 v[44:47], v48 offset1:4
	v_cmp_lt_u64_e64 s7, 3, v[23:24]
	s_or_b32 s21, s7, s21
	s_waitcnt lgkmcnt(0)
	v_fma_f64 v[44:45], v[6:7], v[44:45], 0
	v_fma_f64 v[44:45], v[8:9], v[46:47], v[44:45]
	ds_read_b64 v[46:47], v48 offset:64
	s_waitcnt lgkmcnt(0)
	v_fma_f64 v[44:45], v[21:22], v[46:47], v[44:45]
	v_add_nc_u32_e32 v46, v30, v32
	v_add_nc_u32_e32 v32, v32, v31
	ds_write_b64 v46, v[44:45]
	s_andn2_b32 exec_lo, exec_lo, s21
	s_cbranch_execnz .LBB1_40
	s_branch .LBB1_37
.LBB1_41:                               ;   in Loop: Header=BB1_14 Depth=1
	s_or_b32 exec_lo, exec_lo, s8
	s_waitcnt lgkmcnt(0)
	s_barrier
	buffer_gl0_inv
	s_and_saveexec_b32 s13, s1
	s_cbranch_execz .LBB1_50
; %bb.42:                               ;   in Loop: Header=BB1_14 Depth=1
	s_load_dword s7, s[16:17], 0x4
	v_mov_b32_e32 v10, v17
	v_mov_b32_e32 v13, v3
	;; [unrolled: 1-line block ×5, first 2 shown]
	s_waitcnt lgkmcnt(0)
	s_cmp_lt_u32 s0, s7
	s_cselect_b32 s7, 14, 20
	s_add_u32 s14, s16, s7
	s_addc_u32 s15, s17, 0
	global_load_ushort v6, v3, s[14:15]
	s_mov_b32 s14, 0
	s_waitcnt vmcnt(0)
	v_and_b32_e32 v32, 0xffff, v6
	v_lshlrev_b32_e32 v45, 5, v32
	s_branch .LBB1_44
.LBB1_43:                               ;   in Loop: Header=BB1_44 Depth=2
	s_or_b32 exec_lo, exec_lo, s15
	v_add_co_u32 v12, s7, v12, s18
	v_add_co_ci_u32_e64 v13, null, 0, v13, s7
	v_add_co_u32 v10, s8, v10, s12
	v_add_co_ci_u32_e64 v11, null, 0, v11, s8
	v_cmp_lt_u64_e64 s7, 3, v[12:13]
	v_add_nc_u32_e32 v44, s12, v44
	s_or_b32 s14, s7, s14
	s_andn2_b32 exec_lo, exec_lo, s14
	s_cbranch_execz .LBB1_50
.LBB1_44:                               ;   Parent Loop BB1_14 Depth=1
                                        ; =>  This Loop Header: Depth=2
                                        ;       Child Loop BB1_47 Depth 3
                                        ;         Child Loop BB1_49 Depth 4
	s_and_saveexec_b32 s15, s5
	s_cbranch_execz .LBB1_43
; %bb.45:                               ;   in Loop: Header=BB1_44 Depth=2
	s_load_dword s7, s[16:17], 0x0
	v_mad_u64_u32 v[21:22], null, v12, 24, 0x400
	v_mov_b32_e32 v23, v11
	v_mov_b32_e32 v25, v5
	;; [unrolled: 1-line block ×6, first 2 shown]
	s_waitcnt lgkmcnt(0)
	s_cmp_lt_u32 s6, s7
	s_cselect_b32 s7, 12, 18
	s_add_u32 s20, s16, s7
	s_addc_u32 s21, s17, 0
	global_load_ushort v6, v3, s[20:21]
	s_mov_b32 s20, 0
	s_waitcnt vmcnt(0)
	v_and_b32_e32 v46, 0xffff, v6
	v_lshlrev_b32_e32 v49, 3, v46
	s_branch .LBB1_47
.LBB1_46:                               ;   in Loop: Header=BB1_47 Depth=3
	s_inst_prefetch 0x2
	s_or_b32 exec_lo, exec_lo, s21
	v_add_co_u32 v24, s7, v24, v32
	v_add_co_ci_u32_e64 v25, null, 0, v25, s7
	v_add_co_u32 v22, s8, v22, v45
	v_add_co_ci_u32_e64 v23, null, 0, v23, s8
	v_cmp_lt_u64_e64 s7, 3, v[24:25]
	v_add_nc_u32_e32 v48, v48, v45
	v_add_nc_u32_e32 v47, v47, v45
	s_or_b32 s20, s7, s20
	s_andn2_b32 exec_lo, exec_lo, s20
	s_cbranch_execz .LBB1_43
.LBB1_47:                               ;   Parent Loop BB1_14 Depth=1
                                        ;     Parent Loop BB1_44 Depth=2
                                        ; =>    This Loop Header: Depth=3
                                        ;         Child Loop BB1_49 Depth 4
	s_and_saveexec_b32 s21, s4
	s_cbranch_execz .LBB1_46
; %bb.48:                               ;   in Loop: Header=BB1_47 Depth=3
	ds_read2_b64 v[6:9], v21 offset1:1
	ds_read_b64 v[26:27], v21 offset:16
	v_mov_b32_e32 v29, v23
	v_mov_b32_e32 v31, v1
	;; [unrolled: 1-line block ×5, first 2 shown]
	s_mov_b32 s22, 0
	s_inst_prefetch 0x1
	.p2align	6
.LBB1_49:                               ;   Parent Loop BB1_14 Depth=1
                                        ;     Parent Loop BB1_44 Depth=2
                                        ;       Parent Loop BB1_47 Depth=3
                                        ; =>      This Inner Loop Header: Depth=4
	global_load_dwordx2 v[55:56], v[28:29], off
	v_add_nc_u32_e32 v57, v47, v50
	v_add_co_u32 v30, s7, v30, v46
	v_add_co_ci_u32_e64 v31, null, 0, v31, s7
	ds_read2_b64 v[51:54], v57 offset1:16
	v_add_co_u32 v28, s8, v28, v49
	v_cmp_lt_u64_e64 s7, 3, v[30:31]
	v_add_co_ci_u32_e64 v29, null, 0, v29, s8
	s_or_b32 s22, s7, s22
	s_waitcnt lgkmcnt(0)
	v_fma_f64 v[51:52], v[6:7], v[51:52], 0
	v_fma_f64 v[51:52], v[8:9], v[53:54], v[51:52]
	ds_read_b64 v[53:54], v57 offset:256
	s_waitcnt lgkmcnt(0)
	v_fma_f64 v[51:52], v[26:27], v[53:54], v[51:52]
	v_add_nc_u32_e32 v53, v48, v50
	v_add_nc_u32_e32 v50, v50, v49
	s_waitcnt vmcnt(0)
	v_mul_f64 v[51:52], v[55:56], v[51:52]
	ds_write_b64 v53, v[51:52]
	s_andn2_b32 exec_lo, exec_lo, s22
	s_cbranch_execnz .LBB1_49
	s_branch .LBB1_46
.LBB1_50:                               ;   in Loop: Header=BB1_14 Depth=1
	s_or_b32 exec_lo, exec_lo, s13
	s_waitcnt lgkmcnt(0)
	s_barrier
	buffer_gl0_inv
	s_and_saveexec_b32 s8, s1
	s_cbranch_execz .LBB1_59
; %bb.51:                               ;   in Loop: Header=BB1_14 Depth=1
	s_load_dword s7, s[16:17], 0x4
	v_mov_b32_e32 v22, v3
	v_mov_b32_e32 v29, v40
	;; [unrolled: 1-line block ×3, first 2 shown]
	s_mov_b32 s13, 0
	s_waitcnt lgkmcnt(0)
	s_cmp_lt_u32 s0, s7
	s_cselect_b32 s7, 14, 20
	s_add_u32 s14, s16, s7
	s_addc_u32 s15, s17, 0
	global_load_ushort v6, v3, s[14:15]
	s_waitcnt vmcnt(0)
	v_and_b32_e32 v27, 0xffff, v6
	v_mul_lo_u32 v28, v27, 24
	s_branch .LBB1_53
.LBB1_52:                               ;   in Loop: Header=BB1_53 Depth=2
	s_or_b32 exec_lo, exec_lo, s14
	v_add_co_u32 v21, s7, v21, s18
	v_add_co_ci_u32_e64 v22, null, 0, v22, s7
	v_add_nc_u32_e32 v29, s9, v29
	v_cmp_lt_u64_e64 s7, 3, v[21:22]
	s_or_b32 s13, s7, s13
	s_andn2_b32 exec_lo, exec_lo, s13
	s_cbranch_execz .LBB1_59
.LBB1_53:                               ;   Parent Loop BB1_14 Depth=1
                                        ; =>  This Loop Header: Depth=2
                                        ;       Child Loop BB1_56 Depth 3
                                        ;         Child Loop BB1_58 Depth 4
	s_and_saveexec_b32 s14, s5
	s_cbranch_execz .LBB1_52
; %bb.54:                               ;   in Loop: Header=BB1_53 Depth=2
	s_load_dword s7, s[16:17], 0x0
	v_mov_b32_e32 v24, v5
	v_lshl_add_u32 v31, v21, 7, 0x200
	v_mov_b32_e32 v32, v29
	v_mov_b32_e32 v23, v4
	s_mov_b32 s15, 0
	s_waitcnt lgkmcnt(0)
	s_cmp_lt_u32 s6, s7
	s_cselect_b32 s7, 12, 18
	s_add_u32 s20, s16, s7
	s_addc_u32 s21, s17, 0
	global_load_ushort v6, v3, s[20:21]
	s_waitcnt vmcnt(0)
	v_and_b32_e32 v30, 0xffff, v6
	v_lshlrev_b32_e32 v44, 3, v30
	v_lshlrev_b32_e32 v45, 5, v30
	s_branch .LBB1_56
.LBB1_55:                               ;   in Loop: Header=BB1_56 Depth=3
	s_or_b32 exec_lo, exec_lo, s20
	v_add_co_u32 v23, s7, v23, v27
	v_add_co_ci_u32_e64 v24, null, 0, v24, s7
	v_add_nc_u32_e32 v32, v32, v28
	v_cmp_lt_u64_e64 s7, 3, v[23:24]
	s_or_b32 s15, s7, s15
	s_andn2_b32 exec_lo, exec_lo, s15
	s_cbranch_execz .LBB1_52
.LBB1_56:                               ;   Parent Loop BB1_14 Depth=1
                                        ;     Parent Loop BB1_53 Depth=2
                                        ; =>    This Loop Header: Depth=3
                                        ;         Child Loop BB1_58 Depth 4
	s_and_saveexec_b32 s20, s3
	s_cbranch_execz .LBB1_55
; %bb.57:                               ;   in Loop: Header=BB1_56 Depth=3
	v_lshl_add_u32 v10, v23, 5, v31
	v_mov_b32_e32 v26, v1
	v_mov_b32_e32 v46, v41
	;; [unrolled: 1-line block ×4, first 2 shown]
	ds_read_b128 v[6:9], v10
	ds_read_b128 v[10:13], v10 offset:16
	s_mov_b32 s21, 0
	.p2align	6
.LBB1_58:                               ;   Parent Loop BB1_14 Depth=1
                                        ;     Parent Loop BB1_53 Depth=2
                                        ;       Parent Loop BB1_56 Depth=3
                                        ; =>      This Inner Loop Header: Depth=4
	ds_read_b128 v[48:51], v46
	ds_read_b128 v[52:55], v46 offset:16
	v_add_co_u32 v25, s7, v25, v30
	v_add_co_ci_u32_e64 v26, null, 0, v26, s7
	v_add_nc_u32_e32 v46, v46, v45
	v_cmp_lt_u64_e64 s7, 2, v[25:26]
	s_or_b32 s21, s7, s21
	s_waitcnt lgkmcnt(1)
	v_fma_f64 v[48:49], v[6:7], v[48:49], 0
	v_fma_f64 v[48:49], v[8:9], v[50:51], v[48:49]
	s_waitcnt lgkmcnt(0)
	v_fma_f64 v[48:49], v[10:11], v[52:53], v[48:49]
	v_fma_f64 v[48:49], v[12:13], v[54:55], v[48:49]
	ds_write_b64 v47, v[48:49]
	v_add_nc_u32_e32 v47, v47, v44
	s_andn2_b32 exec_lo, exec_lo, s21
	s_cbranch_execnz .LBB1_58
	s_branch .LBB1_55
.LBB1_59:                               ;   in Loop: Header=BB1_14 Depth=1
	s_or_b32 exec_lo, exec_lo, s8
	s_waitcnt lgkmcnt(0)
	s_barrier
	buffer_gl0_inv
	s_and_saveexec_b32 s8, s1
	s_cbranch_execz .LBB1_68
; %bb.60:                               ;   in Loop: Header=BB1_14 Depth=1
	s_load_dword s7, s[16:17], 0x4
	v_mov_b32_e32 v22, v3
	v_mov_b32_e32 v29, v33
	;; [unrolled: 1-line block ×4, first 2 shown]
	s_mov_b32 s13, 0
	s_waitcnt lgkmcnt(0)
	s_cmp_lt_u32 s0, s7
	s_cselect_b32 s7, 14, 20
	s_add_u32 s14, s16, s7
	s_addc_u32 s15, s17, 0
	global_load_ushort v6, v3, s[14:15]
	s_waitcnt vmcnt(0)
	v_and_b32_e32 v27, 0xffff, v6
	v_mul_lo_u32 v28, v27, 24
	s_branch .LBB1_62
.LBB1_61:                               ;   in Loop: Header=BB1_62 Depth=2
	s_or_b32 exec_lo, exec_lo, s14
	v_add_co_u32 v21, s7, v21, s18
	v_add_co_ci_u32_e64 v22, null, 0, v22, s7
	v_add_nc_u32_e32 v30, s19, v30
	v_add_nc_u32_e32 v29, s9, v29
	v_cmp_lt_u64_e64 s7, 3, v[21:22]
	s_or_b32 s13, s7, s13
	s_andn2_b32 exec_lo, exec_lo, s13
	s_cbranch_execz .LBB1_68
.LBB1_62:                               ;   Parent Loop BB1_14 Depth=1
                                        ; =>  This Loop Header: Depth=2
                                        ;       Child Loop BB1_65 Depth 3
                                        ;         Child Loop BB1_67 Depth 4
	s_and_saveexec_b32 s14, s2
	s_cbranch_execz .LBB1_61
; %bb.63:                               ;   in Loop: Header=BB1_62 Depth=2
	s_load_dword s7, s[16:17], 0x0
	v_mov_b32_e32 v24, v5
	v_mov_b32_e32 v32, v30
	;; [unrolled: 1-line block ×3, first 2 shown]
	s_mov_b32 s15, 0
	s_waitcnt lgkmcnt(0)
	s_cmp_lt_u32 s6, s7
	s_cselect_b32 s7, 12, 18
	s_add_u32 s20, s16, s7
	s_addc_u32 s21, s17, 0
	global_load_ushort v6, v3, s[20:21]
	s_waitcnt vmcnt(0)
	v_and_b32_e32 v31, 0xffff, v6
	v_lshlrev_b32_e32 v44, 3, v31
	s_branch .LBB1_65
.LBB1_64:                               ;   in Loop: Header=BB1_65 Depth=3
	s_or_b32 exec_lo, exec_lo, s20
	v_add_co_u32 v23, s7, v23, v27
	v_add_co_ci_u32_e64 v24, null, 0, v24, s7
	v_add_nc_u32_e32 v32, v32, v28
	v_cmp_lt_u64_e64 s7, 2, v[23:24]
	s_or_b32 s15, s7, s15
	s_andn2_b32 exec_lo, exec_lo, s15
	s_cbranch_execz .LBB1_61
.LBB1_65:                               ;   Parent Loop BB1_14 Depth=1
                                        ;     Parent Loop BB1_62 Depth=2
                                        ; =>    This Loop Header: Depth=3
                                        ;         Child Loop BB1_67 Depth 4
	s_and_saveexec_b32 s20, s3
	s_cbranch_execz .LBB1_64
; %bb.66:                               ;   in Loop: Header=BB1_65 Depth=3
	v_lshlrev_b32_e32 v10, 5, v23
	v_mov_b32_e32 v26, v1
	v_mov_b32_e32 v45, 0
	;; [unrolled: 1-line block ×3, first 2 shown]
	s_mov_b32 s21, 0
	ds_read_b128 v[6:9], v10 offset:1120
	ds_read_b128 v[10:13], v10 offset:1136
	.p2align	6
.LBB1_67:                               ;   Parent Loop BB1_14 Depth=1
                                        ;     Parent Loop BB1_62 Depth=2
                                        ;       Parent Loop BB1_65 Depth=3
                                        ; =>      This Inner Loop Header: Depth=4
	v_add_nc_u32_e32 v52, v29, v45
	v_add_co_u32 v25, s7, v25, v31
	v_add_co_ci_u32_e64 v26, null, 0, v26, s7
	ds_read2_b64 v[46:49], v52 offset1:3
	v_cmp_lt_u64_e64 s7, 2, v[25:26]
	s_or_b32 s21, s7, s21
	s_waitcnt lgkmcnt(0)
	v_fma_f64 v[46:47], v[6:7], v[46:47], 0
	v_fma_f64 v[50:51], v[8:9], v[48:49], v[46:47]
	ds_read2_b64 v[46:49], v52 offset0:6 offset1:9
	s_waitcnt lgkmcnt(0)
	v_fma_f64 v[46:47], v[10:11], v[46:47], v[50:51]
	v_fma_f64 v[46:47], v[12:13], v[48:49], v[46:47]
	v_add_nc_u32_e32 v48, v32, v45
	v_add_nc_u32_e32 v45, v45, v44
	ds_write_b64 v48, v[46:47]
	s_andn2_b32 exec_lo, exec_lo, s21
	s_cbranch_execnz .LBB1_67
	s_branch .LBB1_64
.LBB1_68:                               ;   in Loop: Header=BB1_14 Depth=1
	s_or_b32 exec_lo, exec_lo, s8
	s_waitcnt lgkmcnt(0)
	s_barrier
	buffer_gl0_inv
	s_and_saveexec_b32 s13, vcc_lo
	s_cbranch_execz .LBB1_13
; %bb.69:                               ;   in Loop: Header=BB1_14 Depth=1
	s_load_dword s7, s[16:17], 0x4
	v_mov_b32_e32 v22, v20
	v_mov_b32_e32 v24, v3
	;; [unrolled: 1-line block ×4, first 2 shown]
	s_waitcnt lgkmcnt(0)
	s_cmp_lt_u32 s0, s7
	s_cselect_b32 s7, 14, 20
	s_add_u32 s14, s16, s7
	s_addc_u32 s15, s17, 0
	global_load_ushort v6, v3, s[14:15]
	s_mov_b32 s14, 0
	s_waitcnt vmcnt(0)
	v_and_b32_e32 v44, 0xffff, v6
	v_mul_lo_u32 v45, v44, 24
	s_branch .LBB1_71
.LBB1_70:                               ;   in Loop: Header=BB1_71 Depth=2
	s_or_b32 exec_lo, exec_lo, s15
	v_add_co_u32 v23, s7, v23, s18
	v_add_co_ci_u32_e64 v24, null, 0, v24, s7
	v_add_co_u32 v21, s8, v21, s19
	v_add_co_ci_u32_e64 v22, null, 0, v22, s8
	v_cmp_lt_u64_e64 s7, 2, v[23:24]
	s_or_b32 s14, s7, s14
	s_andn2_b32 exec_lo, exec_lo, s14
	s_cbranch_execz .LBB1_13
.LBB1_71:                               ;   Parent Loop BB1_14 Depth=1
                                        ; =>  This Loop Header: Depth=2
                                        ;       Child Loop BB1_74 Depth 3
                                        ;         Child Loop BB1_76 Depth 4
	s_and_saveexec_b32 s15, s2
	s_cbranch_execz .LBB1_70
; %bb.72:                               ;   in Loop: Header=BB1_71 Depth=2
	s_load_dword s7, s[16:17], 0xc
	v_mov_b32_e32 v26, v22
	v_mov_b32_e32 v28, v5
	v_lshl_add_u32 v46, v23, 5, 0x460
	v_mov_b32_e32 v47, v43
	v_mov_b32_e32 v25, v21
	;; [unrolled: 1-line block ×3, first 2 shown]
	s_mov_b32 s22, 0
	s_waitcnt lgkmcnt(0)
	s_and_b32 s20, s7, 0xffff
	s_lshl_b32 s21, s20, 3
	s_branch .LBB1_74
.LBB1_73:                               ;   in Loop: Header=BB1_74 Depth=3
	s_or_b32 exec_lo, exec_lo, s23
	v_add_co_u32 v27, s7, v27, v44
	v_add_co_ci_u32_e64 v28, null, 0, v28, s7
	v_add_co_u32 v25, s8, v25, v45
	v_add_co_ci_u32_e64 v26, null, 0, v26, s8
	v_cmp_lt_u64_e64 s7, 2, v[27:28]
	v_add_nc_u32_e32 v47, v47, v45
	s_or_b32 s22, s7, s22
	s_andn2_b32 exec_lo, exec_lo, s22
	s_cbranch_execz .LBB1_70
.LBB1_74:                               ;   Parent Loop BB1_14 Depth=1
                                        ;     Parent Loop BB1_71 Depth=2
                                        ; =>    This Loop Header: Depth=3
                                        ;         Child Loop BB1_76 Depth 4
	s_and_saveexec_b32 s23, s3
	s_cbranch_execz .LBB1_73
; %bb.75:                               ;   in Loop: Header=BB1_74 Depth=3
	ds_read_b128 v[6:9], v46
	ds_read_b128 v[10:13], v46 offset:16
	v_mov_b32_e32 v30, v26
	v_mov_b32_e32 v32, v1
	;; [unrolled: 1-line block ×5, first 2 shown]
	s_mov_b32 s24, 0
	.p2align	6
.LBB1_76:                               ;   Parent Loop BB1_14 Depth=1
                                        ;     Parent Loop BB1_71 Depth=2
                                        ;       Parent Loop BB1_74 Depth=3
                                        ; =>      This Inner Loop Header: Depth=4
	ds_read2_b64 v[49:52], v48 offset1:9
	v_add_co_u32 v31, s7, v31, s20
	v_add_co_ci_u32_e64 v32, null, 0, v32, s7
	v_cmp_lt_u64_e64 s7, 2, v[31:32]
	s_or_b32 s24, s7, s24
	s_waitcnt lgkmcnt(0)
	v_fma_f64 v[49:50], v[49:50], v[6:7], 0
	v_fma_f64 v[53:54], v[51:52], v[8:9], v[49:50]
	ds_read2_b64 v[49:52], v48 offset0:18 offset1:27
	v_add_nc_u32_e32 v48, s21, v48
	s_waitcnt lgkmcnt(0)
	v_fma_f64 v[49:50], v[49:50], v[10:11], v[53:54]
	v_fma_f64 v[49:50], v[51:52], v[12:13], v[49:50]
	global_store_dwordx2 v[29:30], v[49:50], off
	v_add_co_u32 v29, s8, v29, s21
	v_add_co_ci_u32_e64 v30, null, 0, v30, s8
	s_andn2_b32 exec_lo, exec_lo, s24
	s_cbranch_execnz .LBB1_76
	s_branch .LBB1_73
.LBB1_77:
	s_endpgm
	.section	.rodata,"a",@progbits
	.p2align	6, 0x0
	.amdhsa_kernel _ZN4RAJA34launch_new_reduce_global_fcn_fixedIZN8rajaperf4apps11MASSVEC3DPA17runHipVariantImplILm64ELm0EEEvNS1_9VariantIDEEUlNS_14LaunchContextTINS_3hip33LaunchContextIndicesAndDimsPolicyINS7_14IndicesAndDimsILb0ELb0ELb0ELb0EEEEEEEE_Li64ENS_4expt15ForallParamPackIJEEEEEvT_T1_
		.amdhsa_group_segment_fixed_size 1216
		.amdhsa_private_segment_fixed_size 0
		.amdhsa_kernarg_size 304
		.amdhsa_user_sgpr_count 6
		.amdhsa_user_sgpr_private_segment_buffer 1
		.amdhsa_user_sgpr_dispatch_ptr 0
		.amdhsa_user_sgpr_queue_ptr 0
		.amdhsa_user_sgpr_kernarg_segment_ptr 1
		.amdhsa_user_sgpr_dispatch_id 0
		.amdhsa_user_sgpr_flat_scratch_init 0
		.amdhsa_user_sgpr_private_segment_size 0
		.amdhsa_wavefront_size32 1
		.amdhsa_uses_dynamic_stack 0
		.amdhsa_system_sgpr_private_segment_wavefront_offset 0
		.amdhsa_system_sgpr_workgroup_id_x 1
		.amdhsa_system_sgpr_workgroup_id_y 1
		.amdhsa_system_sgpr_workgroup_id_z 0
		.amdhsa_system_sgpr_workgroup_info 0
		.amdhsa_system_vgpr_workitem_id 2
		.amdhsa_next_free_vgpr 58
		.amdhsa_next_free_sgpr 25
		.amdhsa_reserve_vcc 1
		.amdhsa_reserve_flat_scratch 0
		.amdhsa_float_round_mode_32 0
		.amdhsa_float_round_mode_16_64 0
		.amdhsa_float_denorm_mode_32 3
		.amdhsa_float_denorm_mode_16_64 3
		.amdhsa_dx10_clamp 1
		.amdhsa_ieee_mode 1
		.amdhsa_fp16_overflow 0
		.amdhsa_workgroup_processor_mode 1
		.amdhsa_memory_ordered 1
		.amdhsa_forward_progress 1
		.amdhsa_shared_vgpr_count 0
		.amdhsa_exception_fp_ieee_invalid_op 0
		.amdhsa_exception_fp_denorm_src 0
		.amdhsa_exception_fp_ieee_div_zero 0
		.amdhsa_exception_fp_ieee_overflow 0
		.amdhsa_exception_fp_ieee_underflow 0
		.amdhsa_exception_fp_ieee_inexact 0
		.amdhsa_exception_int_div_zero 0
	.end_amdhsa_kernel
	.section	.text._ZN4RAJA34launch_new_reduce_global_fcn_fixedIZN8rajaperf4apps11MASSVEC3DPA17runHipVariantImplILm64ELm0EEEvNS1_9VariantIDEEUlNS_14LaunchContextTINS_3hip33LaunchContextIndicesAndDimsPolicyINS7_14IndicesAndDimsILb0ELb0ELb0ELb0EEEEEEEE_Li64ENS_4expt15ForallParamPackIJEEEEEvT_T1_,"axG",@progbits,_ZN4RAJA34launch_new_reduce_global_fcn_fixedIZN8rajaperf4apps11MASSVEC3DPA17runHipVariantImplILm64ELm0EEEvNS1_9VariantIDEEUlNS_14LaunchContextTINS_3hip33LaunchContextIndicesAndDimsPolicyINS7_14IndicesAndDimsILb0ELb0ELb0ELb0EEEEEEEE_Li64ENS_4expt15ForallParamPackIJEEEEEvT_T1_,comdat
.Lfunc_end1:
	.size	_ZN4RAJA34launch_new_reduce_global_fcn_fixedIZN8rajaperf4apps11MASSVEC3DPA17runHipVariantImplILm64ELm0EEEvNS1_9VariantIDEEUlNS_14LaunchContextTINS_3hip33LaunchContextIndicesAndDimsPolicyINS7_14IndicesAndDimsILb0ELb0ELb0ELb0EEEEEEEE_Li64ENS_4expt15ForallParamPackIJEEEEEvT_T1_, .Lfunc_end1-_ZN4RAJA34launch_new_reduce_global_fcn_fixedIZN8rajaperf4apps11MASSVEC3DPA17runHipVariantImplILm64ELm0EEEvNS1_9VariantIDEEUlNS_14LaunchContextTINS_3hip33LaunchContextIndicesAndDimsPolicyINS7_14IndicesAndDimsILb0ELb0ELb0ELb0EEEEEEEE_Li64ENS_4expt15ForallParamPackIJEEEEEvT_T1_
                                        ; -- End function
	.set _ZN4RAJA34launch_new_reduce_global_fcn_fixedIZN8rajaperf4apps11MASSVEC3DPA17runHipVariantImplILm64ELm0EEEvNS1_9VariantIDEEUlNS_14LaunchContextTINS_3hip33LaunchContextIndicesAndDimsPolicyINS7_14IndicesAndDimsILb0ELb0ELb0ELb0EEEEEEEE_Li64ENS_4expt15ForallParamPackIJEEEEEvT_T1_.num_vgpr, 58
	.set _ZN4RAJA34launch_new_reduce_global_fcn_fixedIZN8rajaperf4apps11MASSVEC3DPA17runHipVariantImplILm64ELm0EEEvNS1_9VariantIDEEUlNS_14LaunchContextTINS_3hip33LaunchContextIndicesAndDimsPolicyINS7_14IndicesAndDimsILb0ELb0ELb0ELb0EEEEEEEE_Li64ENS_4expt15ForallParamPackIJEEEEEvT_T1_.num_agpr, 0
	.set _ZN4RAJA34launch_new_reduce_global_fcn_fixedIZN8rajaperf4apps11MASSVEC3DPA17runHipVariantImplILm64ELm0EEEvNS1_9VariantIDEEUlNS_14LaunchContextTINS_3hip33LaunchContextIndicesAndDimsPolicyINS7_14IndicesAndDimsILb0ELb0ELb0ELb0EEEEEEEE_Li64ENS_4expt15ForallParamPackIJEEEEEvT_T1_.numbered_sgpr, 25
	.set _ZN4RAJA34launch_new_reduce_global_fcn_fixedIZN8rajaperf4apps11MASSVEC3DPA17runHipVariantImplILm64ELm0EEEvNS1_9VariantIDEEUlNS_14LaunchContextTINS_3hip33LaunchContextIndicesAndDimsPolicyINS7_14IndicesAndDimsILb0ELb0ELb0ELb0EEEEEEEE_Li64ENS_4expt15ForallParamPackIJEEEEEvT_T1_.num_named_barrier, 0
	.set _ZN4RAJA34launch_new_reduce_global_fcn_fixedIZN8rajaperf4apps11MASSVEC3DPA17runHipVariantImplILm64ELm0EEEvNS1_9VariantIDEEUlNS_14LaunchContextTINS_3hip33LaunchContextIndicesAndDimsPolicyINS7_14IndicesAndDimsILb0ELb0ELb0ELb0EEEEEEEE_Li64ENS_4expt15ForallParamPackIJEEEEEvT_T1_.private_seg_size, 0
	.set _ZN4RAJA34launch_new_reduce_global_fcn_fixedIZN8rajaperf4apps11MASSVEC3DPA17runHipVariantImplILm64ELm0EEEvNS1_9VariantIDEEUlNS_14LaunchContextTINS_3hip33LaunchContextIndicesAndDimsPolicyINS7_14IndicesAndDimsILb0ELb0ELb0ELb0EEEEEEEE_Li64ENS_4expt15ForallParamPackIJEEEEEvT_T1_.uses_vcc, 1
	.set _ZN4RAJA34launch_new_reduce_global_fcn_fixedIZN8rajaperf4apps11MASSVEC3DPA17runHipVariantImplILm64ELm0EEEvNS1_9VariantIDEEUlNS_14LaunchContextTINS_3hip33LaunchContextIndicesAndDimsPolicyINS7_14IndicesAndDimsILb0ELb0ELb0ELb0EEEEEEEE_Li64ENS_4expt15ForallParamPackIJEEEEEvT_T1_.uses_flat_scratch, 0
	.set _ZN4RAJA34launch_new_reduce_global_fcn_fixedIZN8rajaperf4apps11MASSVEC3DPA17runHipVariantImplILm64ELm0EEEvNS1_9VariantIDEEUlNS_14LaunchContextTINS_3hip33LaunchContextIndicesAndDimsPolicyINS7_14IndicesAndDimsILb0ELb0ELb0ELb0EEEEEEEE_Li64ENS_4expt15ForallParamPackIJEEEEEvT_T1_.has_dyn_sized_stack, 0
	.set _ZN4RAJA34launch_new_reduce_global_fcn_fixedIZN8rajaperf4apps11MASSVEC3DPA17runHipVariantImplILm64ELm0EEEvNS1_9VariantIDEEUlNS_14LaunchContextTINS_3hip33LaunchContextIndicesAndDimsPolicyINS7_14IndicesAndDimsILb0ELb0ELb0ELb0EEEEEEEE_Li64ENS_4expt15ForallParamPackIJEEEEEvT_T1_.has_recursion, 0
	.set _ZN4RAJA34launch_new_reduce_global_fcn_fixedIZN8rajaperf4apps11MASSVEC3DPA17runHipVariantImplILm64ELm0EEEvNS1_9VariantIDEEUlNS_14LaunchContextTINS_3hip33LaunchContextIndicesAndDimsPolicyINS7_14IndicesAndDimsILb0ELb0ELb0ELb0EEEEEEEE_Li64ENS_4expt15ForallParamPackIJEEEEEvT_T1_.has_indirect_call, 0
	.section	.AMDGPU.csdata,"",@progbits
; Kernel info:
; codeLenInByte = 4608
; TotalNumSgprs: 27
; NumVgprs: 58
; ScratchSize: 0
; MemoryBound: 0
; FloatMode: 240
; IeeeMode: 1
; LDSByteSize: 1216 bytes/workgroup (compile time only)
; SGPRBlocks: 0
; VGPRBlocks: 7
; NumSGPRsForWavesPerEU: 27
; NumVGPRsForWavesPerEU: 58
; Occupancy: 16
; WaveLimiterHint : 0
; COMPUTE_PGM_RSRC2:SCRATCH_EN: 0
; COMPUTE_PGM_RSRC2:USER_SGPR: 6
; COMPUTE_PGM_RSRC2:TRAP_HANDLER: 0
; COMPUTE_PGM_RSRC2:TGID_X_EN: 1
; COMPUTE_PGM_RSRC2:TGID_Y_EN: 1
; COMPUTE_PGM_RSRC2:TGID_Z_EN: 0
; COMPUTE_PGM_RSRC2:TIDIG_COMP_CNT: 2
	.section	.text._ZN8rajaperf4apps17MassVec3DPADirectILm64EEEvPdS2_S2_S2_,"axG",@progbits,_ZN8rajaperf4apps17MassVec3DPADirectILm64EEEvPdS2_S2_S2_,comdat
	.protected	_ZN8rajaperf4apps17MassVec3DPADirectILm64EEEvPdS2_S2_S2_ ; -- Begin function _ZN8rajaperf4apps17MassVec3DPADirectILm64EEEvPdS2_S2_S2_
	.globl	_ZN8rajaperf4apps17MassVec3DPADirectILm64EEEvPdS2_S2_S2_
	.p2align	8
	.type	_ZN8rajaperf4apps17MassVec3DPADirectILm64EEEvPdS2_S2_S2_,@function
_ZN8rajaperf4apps17MassVec3DPADirectILm64EEEvPdS2_S2_S2_: ; @_ZN8rajaperf4apps17MassVec3DPADirectILm64EEEvPdS2_S2_S2_
; %bb.0:
	v_mov_b32_e32 v3, v1
	v_cmp_ne_u32_e32 vcc_lo, 0, v2
	v_cmp_lt_u32_e64 s0, 2, v3
	s_or_b32 s0, vcc_lo, s0
	s_and_saveexec_b32 s1, s0
	s_xor_b32 s0, exec_lo, s1
	s_or_saveexec_b32 s0, s0
	s_load_dwordx8 s[8:15], s[4:5], 0x0
	s_xor_b32 exec_lo, exec_lo, s0
	s_cbranch_execz .LBB2_4
; %bb.1:
	s_mov_b32 s1, exec_lo
	v_cmpx_gt_u32_e32 4, v0
	s_cbranch_execz .LBB2_3
; %bb.2:
	v_lshlrev_b32_e32 v1, 5, v3
	v_lshlrev_b32_e32 v6, 3, v0
	;; [unrolled: 1-line block ×3, first 2 shown]
	s_waitcnt lgkmcnt(0)
	v_add_co_u32 v4, s2, s8, v1
	v_add_co_ci_u32_e64 v5, null, s9, 0, s2
	v_mad_u32_u24 v7, v0, 24, v7
	v_add_co_u32 v4, vcc_lo, v4, v6
	v_add_co_ci_u32_e64 v5, null, 0, v5, vcc_lo
	v_add_nc_u32_e32 v1, v1, v6
	global_load_dwordx2 v[4:5], v[4:5], off
	s_waitcnt vmcnt(0)
	ds_write_b64 v7, v[4:5] offset:1024
	ds_write_b64 v1, v[4:5] offset:1120
.LBB2_3:
	s_or_b32 exec_lo, exec_lo, s1
.LBB2_4:
	s_or_b32 exec_lo, exec_lo, s0
	v_mov_b32_e32 v1, 0
	v_mul_u32_u24_e32 v25, 24, v3
	v_cmp_lt_u32_e64 s1, 2, v3
	s_waitcnt lgkmcnt(0)
	s_mul_i32 s9, s6, 0x288
	s_mul_hi_u32 s8, s6, 0x288
	v_lshlrev_b64 v[11:12], 3, v[0:1]
	v_add_co_u32 v1, s0, s12, v25
	v_add_co_ci_u32_e64 v5, null, s13, 0, s0
	v_cmp_lt_u32_e64 s0, 2, v0
	v_add_co_u32 v4, vcc_lo, v1, v11
	v_add_co_ci_u32_e64 v5, null, v5, v12, vcc_lo
	v_mul_lo_u32 v1, v3, 24
	v_cmp_lt_u32_e32 vcc_lo, 2, v2
	v_mad_u64_u32 v[4:5], null, 0x48, v2, v[4:5]
	s_or_b32 s3, vcc_lo, s1
	v_mad_u32_u24 v13, 0x48, v2, v1
	s_nor_b32 s4, s3, s0
	v_add_co_u32 v6, s2, v4, s9
	v_add_co_ci_u32_e64 v7, null, s8, v5, s2
	v_lshl_add_u32 v14, v0, 3, v13
	s_and_saveexec_b32 s2, s4
	s_cbranch_execz .LBB2_6
; %bb.5:
	global_load_dwordx2 v[4:5], v[6:7], off
	s_waitcnt vmcnt(0)
	ds_write_b64 v14, v[4:5]
.LBB2_6:
	s_or_b32 exec_lo, exec_lo, s2
	s_movk_i32 s5, 0x60
	v_lshlrev_b32_e32 v10, 5, v3
	v_mad_u32_u24 v19, v2, s5, 0x200
	v_lshlrev_b32_e32 v26, 3, v0
	v_mad_u64_u32 v[4:5], null, v0, 24, 0x400
	v_cmp_lt_u32_e64 s2, 3, v0
	v_mul_u32_u24_e32 v27, 0x48, v2
	v_add3_u32 v5, v19, v10, v26
	s_mov_b32 s7, 0
	s_waitcnt lgkmcnt(0)
	s_nor_b32 s5, s3, s2
	s_barrier
	buffer_gl0_inv
	s_and_saveexec_b32 s3, s5
	s_cbranch_execz .LBB2_8
; %bb.7:
	ds_read2_b64 v[15:18], v4 offset1:1
	ds_read2_b64 v[20:23], v13 offset1:1
	ds_read_b64 v[8:9], v13 offset:16
	ds_read_b64 v[28:29], v4 offset:16
	s_waitcnt lgkmcnt(2)
	v_fma_f64 v[15:16], v[20:21], v[15:16], 0
	v_fma_f64 v[15:16], v[22:23], v[17:18], v[15:16]
	s_waitcnt lgkmcnt(0)
	v_fma_f64 v[8:9], v[8:9], v[28:29], v[15:16]
	ds_write_b64 v5, v[8:9]
.LBB2_8:
	s_or_b32 exec_lo, exec_lo, s3
	v_mad_u32_u24 v21, v2, 56, v27
	v_cmp_lt_u32_e64 s3, 3, v3
	v_mad_u64_u32 v[8:9], null, v3, 24, 0x400
	v_add_nc_u32_e32 v17, v19, v26
	v_add3_u32 v15, v21, v10, v26
	s_or_b32 s3, vcc_lo, s3
	s_waitcnt lgkmcnt(0)
	s_nor_b32 s3, s3, s2
	s_barrier
	buffer_gl0_inv
	s_and_saveexec_b32 s2, s3
	s_cbranch_execz .LBB2_10
; %bb.9:
	ds_read2_b64 v[28:31], v17 offset1:4
	ds_read2_b64 v[32:35], v8 offset1:1
	ds_read_b64 v[22:23], v17 offset:64
	s_waitcnt lgkmcnt(1)
	v_fma_f64 v[28:29], v[28:29], v[32:33], 0
	v_fma_f64 v[28:29], v[30:31], v[34:35], v[28:29]
	ds_read_b64 v[30:31], v8 offset:16
	s_waitcnt lgkmcnt(0)
	v_fma_f64 v[22:23], v[22:23], v[30:31], v[28:29]
	ds_write_b64 v15, v[22:23]
.LBB2_10:
	s_or_b32 exec_lo, exec_lo, s2
	v_lshlrev_b32_e32 v9, 7, v2
	v_add_co_u32 v20, s2, s10, v10
	v_add_co_ci_u32_e64 v23, null, s11, 0, s2
	v_lshlrev_b32_e32 v22, 5, v2
	v_add_co_u32 v9, vcc_lo, v20, v9
	v_add_co_ci_u32_e64 v20, null, 0, v23, vcc_lo
	v_add_nc_u32_e32 v23, v19, v22
	v_or_b32_e32 v28, v2, v3
	s_lshl_b64 s[6:7], s[6:7], 9
	v_add_nc_u32_e32 v18, v10, v26
	v_add_co_u32 v9, vcc_lo, v9, s6
	v_add_co_ci_u32_e64 v20, null, s7, v20, vcc_lo
	v_add_nc_u32_e32 v19, v23, v10
	v_or_b32_e32 v24, v28, v0
	v_add_co_u32 v9, vcc_lo, v9, v11
	v_mad_u32_u24 v16, v2, 24, 0x400
	v_add_co_ci_u32_e64 v10, null, v20, v12, vcc_lo
	v_add_nc_u32_e32 v20, v19, v26
	v_cmp_gt_u32_e32 vcc_lo, 4, v24
	s_waitcnt lgkmcnt(0)
	s_barrier
	buffer_gl0_inv
	s_and_saveexec_b32 s2, vcc_lo
	s_cbranch_execz .LBB2_12
; %bb.11:
	global_load_dwordx2 v[37:38], v[9:10], off
	ds_read2_b64 v[29:32], v18 offset1:16
	ds_read2_b64 v[33:36], v16 offset1:1
	ds_read_b64 v[39:40], v18 offset:256
	s_waitcnt lgkmcnt(1)
	v_fma_f64 v[29:30], v[29:30], v[33:34], 0
	v_fma_f64 v[29:30], v[31:32], v[35:36], v[29:30]
	ds_read_b64 v[31:32], v16 offset:16
	s_waitcnt lgkmcnt(0)
	v_fma_f64 v[29:30], v[39:40], v[31:32], v[29:30]
	s_waitcnt vmcnt(0)
	v_mul_f64 v[29:30], v[29:30], v[37:38]
	ds_write_b64 v20, v[29:30]
.LBB2_12:
	s_or_b32 exec_lo, exec_lo, s2
	v_sub_nc_u32_e32 v24, v21, v22
	v_cmp_gt_u32_e64 s2, 4, v28
	v_mul_hi_u32_u24_e32 v28, 0x48, v2
	v_lshl_add_u32 v22, v0, 5, 0x460
	s_xor_b32 s6, s0, -1
	v_add3_u32 v21, v24, v1, v26
	s_and_b32 s6, s2, s6
	s_waitcnt lgkmcnt(0)
	s_barrier
	buffer_gl0_inv
	s_and_saveexec_b32 s2, s6
	s_cbranch_execz .LBB2_14
; %bb.13:
	ds_read_b128 v[29:32], v22
	ds_read_b128 v[33:36], v19
	ds_read_b128 v[37:40], v19 offset:16
	ds_read_b128 v[41:44], v22 offset:16
	s_waitcnt lgkmcnt(2)
	v_fma_f64 v[29:30], v[33:34], v[29:30], 0
	v_fma_f64 v[29:30], v[35:36], v[31:32], v[29:30]
	s_waitcnt lgkmcnt(0)
	v_fma_f64 v[29:30], v[37:38], v[41:42], v[29:30]
	v_fma_f64 v[29:30], v[39:40], v[43:44], v[29:30]
	ds_write_b64 v21, v[29:30]
.LBB2_14:
	s_or_b32 exec_lo, exec_lo, s2
	v_mad_i32_i24 v0, 0xffffffc8, v2, v23
	v_cmp_lt_u32_e64 s2, 3, v2
	v_add_nc_u32_e32 v23, v24, v26
	v_lshl_add_u32 v24, v3, 5, 0x460
	s_waitcnt lgkmcnt(0)
	v_add3_u32 v3, v0, v1, v26
	s_or_b32 s1, s2, s1
	s_barrier
	s_nor_b32 s1, s1, s0
	buffer_gl0_inv
	s_and_saveexec_b32 s0, s1
	s_cbranch_execz .LBB2_16
; %bb.15:
	ds_read2_b64 v[29:32], v23 offset1:3
	ds_read_b128 v[33:36], v24
	ds_read_b128 v[37:40], v24 offset:16
	s_waitcnt lgkmcnt(1)
	v_fma_f64 v[29:30], v[29:30], v[33:34], 0
	v_fma_f64 v[33:34], v[31:32], v[35:36], v[29:30]
	ds_read2_b64 v[29:32], v23 offset0:6 offset1:9
	s_waitcnt lgkmcnt(0)
	v_fma_f64 v[29:30], v[29:30], v[37:38], v[33:34]
	v_fma_f64 v[29:30], v[31:32], v[39:40], v[29:30]
	ds_write_b64 v3, v[29:30]
.LBB2_16:
	s_or_b32 exec_lo, exec_lo, s0
	v_add_co_u32 v0, s0, s14, v25
	v_add_co_ci_u32_e64 v25, null, s15, 0, s0
	v_lshl_add_u32 v2, v2, 5, 0x460
	v_add_co_u32 v0, s0, v0, v11
	v_add_co_ci_u32_e64 v12, null, v25, v12, s0
	v_add3_u32 v11, v1, v26, 0x200
	v_add_co_u32 v0, s0, v0, v27
	v_add_co_ci_u32_e64 v1, null, v12, v28, s0
	s_waitcnt lgkmcnt(0)
	v_add_co_u32 v0, s0, v0, s9
	v_add_co_ci_u32_e64 v1, null, s8, v1, s0
	s_barrier
	buffer_gl0_inv
	s_and_saveexec_b32 s0, s4
	s_cbranch_execz .LBB2_18
; %bb.17:
	ds_read2_b64 v[25:28], v11 offset1:9
	ds_read_b128 v[29:32], v2
	ds_read_b128 v[33:36], v2 offset:16
	s_waitcnt lgkmcnt(1)
	v_fma_f64 v[25:26], v[25:26], v[29:30], 0
	v_fma_f64 v[29:30], v[27:28], v[31:32], v[25:26]
	ds_read2_b64 v[25:28], v11 offset0:18 offset1:27
	s_waitcnt lgkmcnt(0)
	v_fma_f64 v[25:26], v[25:26], v[33:34], v[29:30]
	v_fma_f64 v[25:26], v[27:28], v[35:36], v[25:26]
	global_store_dwordx2 v[0:1], v[25:26], off
.LBB2_18:
	s_or_b32 exec_lo, exec_lo, s0
	s_waitcnt_vscnt null, 0x0
	s_barrier
	buffer_gl0_inv
	s_and_saveexec_b32 s0, s4
	s_cbranch_execz .LBB2_20
; %bb.19:
	global_load_dwordx2 v[25:26], v[6:7], off offset:216
	s_waitcnt vmcnt(0)
	ds_write_b64 v14, v[25:26]
.LBB2_20:
	s_or_b32 exec_lo, exec_lo, s0
	s_waitcnt lgkmcnt(0)
	s_barrier
	buffer_gl0_inv
	s_and_saveexec_b32 s0, s5
	s_cbranch_execz .LBB2_22
; %bb.21:
	ds_read2_b64 v[25:28], v4 offset1:1
	ds_read2_b64 v[29:32], v13 offset1:1
	ds_read_b64 v[33:34], v13 offset:16
	ds_read_b64 v[35:36], v4 offset:16
	s_waitcnt lgkmcnt(2)
	v_fma_f64 v[25:26], v[29:30], v[25:26], 0
	v_fma_f64 v[25:26], v[31:32], v[27:28], v[25:26]
	s_waitcnt lgkmcnt(0)
	v_fma_f64 v[25:26], v[33:34], v[35:36], v[25:26]
	ds_write_b64 v5, v[25:26]
.LBB2_22:
	s_or_b32 exec_lo, exec_lo, s0
	s_waitcnt lgkmcnt(0)
	s_barrier
	buffer_gl0_inv
	s_and_saveexec_b32 s0, s3
	s_cbranch_execz .LBB2_24
; %bb.23:
	ds_read2_b64 v[25:28], v17 offset1:4
	ds_read2_b64 v[29:32], v8 offset1:1
	ds_read_b64 v[33:34], v17 offset:64
	s_waitcnt lgkmcnt(1)
	v_fma_f64 v[25:26], v[25:26], v[29:30], 0
	v_fma_f64 v[25:26], v[27:28], v[31:32], v[25:26]
	ds_read_b64 v[27:28], v8 offset:16
	s_waitcnt lgkmcnt(0)
	v_fma_f64 v[25:26], v[33:34], v[27:28], v[25:26]
	ds_write_b64 v15, v[25:26]
.LBB2_24:
	s_or_b32 exec_lo, exec_lo, s0
	s_waitcnt lgkmcnt(0)
	s_barrier
	buffer_gl0_inv
	s_and_saveexec_b32 s0, vcc_lo
	s_cbranch_execz .LBB2_26
; %bb.25:
	global_load_dwordx2 v[33:34], v[9:10], off
	ds_read2_b64 v[25:28], v18 offset1:16
	ds_read2_b64 v[29:32], v16 offset1:1
	ds_read_b64 v[35:36], v18 offset:256
	s_waitcnt lgkmcnt(1)
	v_fma_f64 v[25:26], v[25:26], v[29:30], 0
	v_fma_f64 v[25:26], v[27:28], v[31:32], v[25:26]
	ds_read_b64 v[27:28], v16 offset:16
	s_waitcnt lgkmcnt(0)
	v_fma_f64 v[25:26], v[35:36], v[27:28], v[25:26]
	s_waitcnt vmcnt(0)
	v_mul_f64 v[25:26], v[25:26], v[33:34]
	ds_write_b64 v20, v[25:26]
.LBB2_26:
	s_or_b32 exec_lo, exec_lo, s0
	s_waitcnt lgkmcnt(0)
	s_barrier
	buffer_gl0_inv
	s_and_saveexec_b32 s0, s6
	s_cbranch_execz .LBB2_28
; %bb.27:
	ds_read_b128 v[25:28], v22
	ds_read_b128 v[29:32], v19
	ds_read_b128 v[33:36], v19 offset:16
	ds_read_b128 v[37:40], v22 offset:16
	s_waitcnt lgkmcnt(2)
	v_fma_f64 v[25:26], v[29:30], v[25:26], 0
	v_fma_f64 v[25:26], v[31:32], v[27:28], v[25:26]
	s_waitcnt lgkmcnt(0)
	v_fma_f64 v[25:26], v[33:34], v[37:38], v[25:26]
	v_fma_f64 v[25:26], v[35:36], v[39:40], v[25:26]
	ds_write_b64 v21, v[25:26]
.LBB2_28:
	s_or_b32 exec_lo, exec_lo, s0
	s_waitcnt lgkmcnt(0)
	s_barrier
	buffer_gl0_inv
	s_and_saveexec_b32 s0, s1
	s_cbranch_execz .LBB2_30
; %bb.29:
	ds_read2_b64 v[25:28], v23 offset1:3
	ds_read_b128 v[29:32], v24
	ds_read_b128 v[33:36], v24 offset:16
	s_waitcnt lgkmcnt(1)
	v_fma_f64 v[25:26], v[25:26], v[29:30], 0
	v_fma_f64 v[29:30], v[27:28], v[31:32], v[25:26]
	ds_read2_b64 v[25:28], v23 offset0:6 offset1:9
	s_waitcnt lgkmcnt(0)
	v_fma_f64 v[25:26], v[25:26], v[33:34], v[29:30]
	v_fma_f64 v[25:26], v[27:28], v[35:36], v[25:26]
	ds_write_b64 v3, v[25:26]
.LBB2_30:
	s_or_b32 exec_lo, exec_lo, s0
	s_waitcnt lgkmcnt(0)
	s_barrier
	buffer_gl0_inv
	s_and_saveexec_b32 s0, s4
	s_cbranch_execz .LBB2_32
; %bb.31:
	ds_read2_b64 v[25:28], v11 offset1:9
	ds_read_b128 v[29:32], v2
	ds_read_b128 v[33:36], v2 offset:16
	s_waitcnt lgkmcnt(1)
	v_fma_f64 v[25:26], v[25:26], v[29:30], 0
	v_fma_f64 v[29:30], v[27:28], v[31:32], v[25:26]
	ds_read2_b64 v[25:28], v11 offset0:18 offset1:27
	s_waitcnt lgkmcnt(0)
	v_fma_f64 v[25:26], v[25:26], v[33:34], v[29:30]
	v_fma_f64 v[25:26], v[27:28], v[35:36], v[25:26]
	global_store_dwordx2 v[0:1], v[25:26], off offset:216
.LBB2_32:
	s_or_b32 exec_lo, exec_lo, s0
	s_waitcnt_vscnt null, 0x0
	s_barrier
	buffer_gl0_inv
	s_and_saveexec_b32 s0, s4
	s_cbranch_execz .LBB2_34
; %bb.33:
	global_load_dwordx2 v[6:7], v[6:7], off offset:432
	s_waitcnt vmcnt(0)
	ds_write_b64 v14, v[6:7]
.LBB2_34:
	s_or_b32 exec_lo, exec_lo, s0
	s_waitcnt lgkmcnt(0)
	s_barrier
	buffer_gl0_inv
	s_and_saveexec_b32 s0, s5
	s_cbranch_execz .LBB2_36
; %bb.35:
	ds_read2_b64 v[25:28], v4 offset1:1
	ds_read2_b64 v[29:32], v13 offset1:1
	ds_read_b64 v[6:7], v13 offset:16
	ds_read_b64 v[12:13], v4 offset:16
	s_waitcnt lgkmcnt(2)
	v_fma_f64 v[25:26], v[29:30], v[25:26], 0
	v_fma_f64 v[25:26], v[31:32], v[27:28], v[25:26]
	s_waitcnt lgkmcnt(0)
	v_fma_f64 v[6:7], v[6:7], v[12:13], v[25:26]
	ds_write_b64 v5, v[6:7]
.LBB2_36:
	s_or_b32 exec_lo, exec_lo, s0
	s_waitcnt lgkmcnt(0)
	s_barrier
	buffer_gl0_inv
	s_and_saveexec_b32 s0, s3
	s_cbranch_execz .LBB2_38
; %bb.37:
	ds_read2_b64 v[4:7], v17 offset1:4
	ds_read2_b64 v[25:28], v8 offset1:1
	ds_read_b64 v[12:13], v17 offset:64
	s_waitcnt lgkmcnt(1)
	v_fma_f64 v[4:5], v[4:5], v[25:26], 0
	v_fma_f64 v[4:5], v[6:7], v[27:28], v[4:5]
	ds_read_b64 v[6:7], v8 offset:16
	s_waitcnt lgkmcnt(0)
	v_fma_f64 v[4:5], v[12:13], v[6:7], v[4:5]
	ds_write_b64 v15, v[4:5]
.LBB2_38:
	s_or_b32 exec_lo, exec_lo, s0
	s_waitcnt lgkmcnt(0)
	s_barrier
	buffer_gl0_inv
	s_and_saveexec_b32 s0, vcc_lo
	s_cbranch_execz .LBB2_40
; %bb.39:
	global_load_dwordx2 v[8:9], v[9:10], off
	ds_read2_b64 v[4:7], v18 offset1:16
	ds_read2_b64 v[12:15], v16 offset1:1
	ds_read_b64 v[17:18], v18 offset:256
	s_waitcnt lgkmcnt(1)
	v_fma_f64 v[4:5], v[4:5], v[12:13], 0
	v_fma_f64 v[4:5], v[6:7], v[14:15], v[4:5]
	ds_read_b64 v[6:7], v16 offset:16
	s_waitcnt lgkmcnt(0)
	v_fma_f64 v[4:5], v[17:18], v[6:7], v[4:5]
	s_waitcnt vmcnt(0)
	v_mul_f64 v[4:5], v[4:5], v[8:9]
	ds_write_b64 v20, v[4:5]
.LBB2_40:
	s_or_b32 exec_lo, exec_lo, s0
	s_waitcnt lgkmcnt(0)
	s_barrier
	buffer_gl0_inv
	s_and_saveexec_b32 s0, s6
	s_cbranch_execz .LBB2_42
; %bb.41:
	ds_read_b128 v[4:7], v22
	ds_read_b128 v[12:15], v19
	ds_read_b128 v[16:19], v19 offset:16
	ds_read_b128 v[25:28], v22 offset:16
	s_waitcnt lgkmcnt(2)
	v_fma_f64 v[4:5], v[12:13], v[4:5], 0
	v_fma_f64 v[4:5], v[14:15], v[6:7], v[4:5]
	s_waitcnt lgkmcnt(0)
	v_fma_f64 v[4:5], v[16:17], v[25:26], v[4:5]
	v_fma_f64 v[4:5], v[18:19], v[27:28], v[4:5]
	ds_write_b64 v21, v[4:5]
.LBB2_42:
	s_or_b32 exec_lo, exec_lo, s0
	s_waitcnt lgkmcnt(0)
	s_barrier
	buffer_gl0_inv
	s_and_saveexec_b32 s0, s1
	s_cbranch_execz .LBB2_44
; %bb.43:
	ds_read2_b64 v[4:7], v23 offset1:3
	ds_read_b128 v[12:15], v24
	ds_read_b128 v[16:19], v24 offset:16
	s_waitcnt lgkmcnt(1)
	v_fma_f64 v[4:5], v[4:5], v[12:13], 0
	v_fma_f64 v[8:9], v[6:7], v[14:15], v[4:5]
	ds_read2_b64 v[4:7], v23 offset0:6 offset1:9
	s_waitcnt lgkmcnt(0)
	v_fma_f64 v[4:5], v[4:5], v[16:17], v[8:9]
	v_fma_f64 v[4:5], v[6:7], v[18:19], v[4:5]
	ds_write_b64 v3, v[4:5]
.LBB2_44:
	s_or_b32 exec_lo, exec_lo, s0
	s_waitcnt lgkmcnt(0)
	s_barrier
	buffer_gl0_inv
	s_and_saveexec_b32 s0, s4
	s_cbranch_execz .LBB2_46
; %bb.45:
	ds_read2_b64 v[3:6], v11 offset1:9
	ds_read_b128 v[7:10], v2
	ds_read_b128 v[12:15], v2 offset:16
	s_waitcnt lgkmcnt(1)
	v_fma_f64 v[2:3], v[3:4], v[7:8], 0
	v_fma_f64 v[6:7], v[5:6], v[9:10], v[2:3]
	ds_read2_b64 v[2:5], v11 offset0:18 offset1:27
	s_waitcnt lgkmcnt(0)
	v_fma_f64 v[2:3], v[2:3], v[12:13], v[6:7]
	v_fma_f64 v[2:3], v[4:5], v[14:15], v[2:3]
	global_store_dwordx2 v[0:1], v[2:3], off offset:432
.LBB2_46:
	s_or_b32 exec_lo, exec_lo, s0
	s_waitcnt_vscnt null, 0x0
	s_barrier
	buffer_gl0_inv
	s_endpgm
	.section	.rodata,"a",@progbits
	.p2align	6, 0x0
	.amdhsa_kernel _ZN8rajaperf4apps17MassVec3DPADirectILm64EEEvPdS2_S2_S2_
		.amdhsa_group_segment_fixed_size 1216
		.amdhsa_private_segment_fixed_size 0
		.amdhsa_kernarg_size 32
		.amdhsa_user_sgpr_count 6
		.amdhsa_user_sgpr_private_segment_buffer 1
		.amdhsa_user_sgpr_dispatch_ptr 0
		.amdhsa_user_sgpr_queue_ptr 0
		.amdhsa_user_sgpr_kernarg_segment_ptr 1
		.amdhsa_user_sgpr_dispatch_id 0
		.amdhsa_user_sgpr_flat_scratch_init 0
		.amdhsa_user_sgpr_private_segment_size 0
		.amdhsa_wavefront_size32 1
		.amdhsa_uses_dynamic_stack 0
		.amdhsa_system_sgpr_private_segment_wavefront_offset 0
		.amdhsa_system_sgpr_workgroup_id_x 1
		.amdhsa_system_sgpr_workgroup_id_y 0
		.amdhsa_system_sgpr_workgroup_id_z 0
		.amdhsa_system_sgpr_workgroup_info 0
		.amdhsa_system_vgpr_workitem_id 2
		.amdhsa_next_free_vgpr 45
		.amdhsa_next_free_sgpr 16
		.amdhsa_reserve_vcc 1
		.amdhsa_reserve_flat_scratch 0
		.amdhsa_float_round_mode_32 0
		.amdhsa_float_round_mode_16_64 0
		.amdhsa_float_denorm_mode_32 3
		.amdhsa_float_denorm_mode_16_64 3
		.amdhsa_dx10_clamp 1
		.amdhsa_ieee_mode 1
		.amdhsa_fp16_overflow 0
		.amdhsa_workgroup_processor_mode 1
		.amdhsa_memory_ordered 1
		.amdhsa_forward_progress 1
		.amdhsa_shared_vgpr_count 0
		.amdhsa_exception_fp_ieee_invalid_op 0
		.amdhsa_exception_fp_denorm_src 0
		.amdhsa_exception_fp_ieee_div_zero 0
		.amdhsa_exception_fp_ieee_overflow 0
		.amdhsa_exception_fp_ieee_underflow 0
		.amdhsa_exception_fp_ieee_inexact 0
		.amdhsa_exception_int_div_zero 0
	.end_amdhsa_kernel
	.section	.text._ZN8rajaperf4apps17MassVec3DPADirectILm64EEEvPdS2_S2_S2_,"axG",@progbits,_ZN8rajaperf4apps17MassVec3DPADirectILm64EEEvPdS2_S2_S2_,comdat
.Lfunc_end2:
	.size	_ZN8rajaperf4apps17MassVec3DPADirectILm64EEEvPdS2_S2_S2_, .Lfunc_end2-_ZN8rajaperf4apps17MassVec3DPADirectILm64EEEvPdS2_S2_S2_
                                        ; -- End function
	.set _ZN8rajaperf4apps17MassVec3DPADirectILm64EEEvPdS2_S2_S2_.num_vgpr, 45
	.set _ZN8rajaperf4apps17MassVec3DPADirectILm64EEEvPdS2_S2_S2_.num_agpr, 0
	.set _ZN8rajaperf4apps17MassVec3DPADirectILm64EEEvPdS2_S2_S2_.numbered_sgpr, 16
	.set _ZN8rajaperf4apps17MassVec3DPADirectILm64EEEvPdS2_S2_S2_.num_named_barrier, 0
	.set _ZN8rajaperf4apps17MassVec3DPADirectILm64EEEvPdS2_S2_S2_.private_seg_size, 0
	.set _ZN8rajaperf4apps17MassVec3DPADirectILm64EEEvPdS2_S2_S2_.uses_vcc, 1
	.set _ZN8rajaperf4apps17MassVec3DPADirectILm64EEEvPdS2_S2_S2_.uses_flat_scratch, 0
	.set _ZN8rajaperf4apps17MassVec3DPADirectILm64EEEvPdS2_S2_S2_.has_dyn_sized_stack, 0
	.set _ZN8rajaperf4apps17MassVec3DPADirectILm64EEEvPdS2_S2_S2_.has_recursion, 0
	.set _ZN8rajaperf4apps17MassVec3DPADirectILm64EEEvPdS2_S2_S2_.has_indirect_call, 0
	.section	.AMDGPU.csdata,"",@progbits
; Kernel info:
; codeLenInByte = 2808
; TotalNumSgprs: 18
; NumVgprs: 45
; ScratchSize: 0
; MemoryBound: 1
; FloatMode: 240
; IeeeMode: 1
; LDSByteSize: 1216 bytes/workgroup (compile time only)
; SGPRBlocks: 0
; VGPRBlocks: 5
; NumSGPRsForWavesPerEU: 18
; NumVGPRsForWavesPerEU: 45
; Occupancy: 16
; WaveLimiterHint : 0
; COMPUTE_PGM_RSRC2:SCRATCH_EN: 0
; COMPUTE_PGM_RSRC2:USER_SGPR: 6
; COMPUTE_PGM_RSRC2:TRAP_HANDLER: 0
; COMPUTE_PGM_RSRC2:TGID_X_EN: 1
; COMPUTE_PGM_RSRC2:TGID_Y_EN: 0
; COMPUTE_PGM_RSRC2:TGID_Z_EN: 0
; COMPUTE_PGM_RSRC2:TIDIG_COMP_CNT: 2
	.section	.text._ZN4RAJA34launch_new_reduce_global_fcn_fixedIZN8rajaperf4apps11MASSVEC3DPA17runHipVariantImplILm64ELm1EEEvNS1_9VariantIDEEUlNS_14LaunchContextTINS_3hip33LaunchContextIndicesAndDimsPolicyINS7_14IndicesAndDimsILb0ELb0ELb0ELb0EEEEEEEE_Li64ENS_4expt15ForallParamPackIJEEEEEvT_T1_,"axG",@progbits,_ZN4RAJA34launch_new_reduce_global_fcn_fixedIZN8rajaperf4apps11MASSVEC3DPA17runHipVariantImplILm64ELm1EEEvNS1_9VariantIDEEUlNS_14LaunchContextTINS_3hip33LaunchContextIndicesAndDimsPolicyINS7_14IndicesAndDimsILb0ELb0ELb0ELb0EEEEEEEE_Li64ENS_4expt15ForallParamPackIJEEEEEvT_T1_,comdat
	.protected	_ZN4RAJA34launch_new_reduce_global_fcn_fixedIZN8rajaperf4apps11MASSVEC3DPA17runHipVariantImplILm64ELm1EEEvNS1_9VariantIDEEUlNS_14LaunchContextTINS_3hip33LaunchContextIndicesAndDimsPolicyINS7_14IndicesAndDimsILb0ELb0ELb0ELb0EEEEEEEE_Li64ENS_4expt15ForallParamPackIJEEEEEvT_T1_ ; -- Begin function _ZN4RAJA34launch_new_reduce_global_fcn_fixedIZN8rajaperf4apps11MASSVEC3DPA17runHipVariantImplILm64ELm1EEEvNS1_9VariantIDEEUlNS_14LaunchContextTINS_3hip33LaunchContextIndicesAndDimsPolicyINS7_14IndicesAndDimsILb0ELb0ELb0ELb0EEEEEEEE_Li64ENS_4expt15ForallParamPackIJEEEEEvT_T1_
	.globl	_ZN4RAJA34launch_new_reduce_global_fcn_fixedIZN8rajaperf4apps11MASSVEC3DPA17runHipVariantImplILm64ELm1EEEvNS1_9VariantIDEEUlNS_14LaunchContextTINS_3hip33LaunchContextIndicesAndDimsPolicyINS7_14IndicesAndDimsILb0ELb0ELb0ELb0EEEEEEEE_Li64ENS_4expt15ForallParamPackIJEEEEEvT_T1_
	.p2align	8
	.type	_ZN4RAJA34launch_new_reduce_global_fcn_fixedIZN8rajaperf4apps11MASSVEC3DPA17runHipVariantImplILm64ELm1EEEvNS1_9VariantIDEEUlNS_14LaunchContextTINS_3hip33LaunchContextIndicesAndDimsPolicyINS7_14IndicesAndDimsILb0ELb0ELb0ELb0EEEEEEEE_Li64ENS_4expt15ForallParamPackIJEEEEEvT_T1_,@function
_ZN4RAJA34launch_new_reduce_global_fcn_fixedIZN8rajaperf4apps11MASSVEC3DPA17runHipVariantImplILm64ELm1EEEvNS1_9VariantIDEEUlNS_14LaunchContextTINS_3hip33LaunchContextIndicesAndDimsPolicyINS7_14IndicesAndDimsILb0ELb0ELb0ELb0EEEEEEEE_Li64ENS_4expt15ForallParamPackIJEEEEEvT_T1_: ; @_ZN4RAJA34launch_new_reduce_global_fcn_fixedIZN8rajaperf4apps11MASSVEC3DPA17runHipVariantImplILm64ELm1EEEvNS1_9VariantIDEEUlNS_14LaunchContextTINS_3hip33LaunchContextIndicesAndDimsPolicyINS7_14IndicesAndDimsILb0ELb0ELb0ELb0EEEEEEEE_Li64ENS_4expt15ForallParamPackIJEEEEEvT_T1_
; %bb.0:
	s_load_dwordx2 s[0:1], s[4:5], 0x0
	s_mov_b32 s7, 0
	s_waitcnt lgkmcnt(0)
	v_cmp_le_i64_e64 s0, s[0:1], s[6:7]
	s_and_b32 vcc_lo, exec_lo, s0
	s_cbranch_vccnz .LBB3_46
; %bb.1:
	s_clause 0x1
	s_load_dwordx4 s[8:11], s[4:5], 0x10
	s_load_dwordx2 s[12:13], s[4:5], 0x20
	v_mov_b32_e32 v3, v0
	v_mov_b32_e32 v5, v2
	;; [unrolled: 1-line block ×3, first 2 shown]
	v_cmp_gt_u32_e32 vcc_lo, 3, v1
	v_lshlrev_b32_e32 v12, 5, v1
	v_cmp_gt_u32_e64 s0, 4, v3
	v_cmp_eq_u32_e64 s1, 0, v5
	v_lshlrev_b64 v[13:14], 3, v[3:4]
	s_and_b32 s0, vcc_lo, s0
	s_and_b32 s1, s0, s1
	s_and_saveexec_b32 s0, s1
	s_cbranch_execz .LBB3_3
; %bb.2:
	s_load_dwordx2 s[2:3], s[4:5], 0x8
	s_waitcnt lgkmcnt(0)
	v_add_co_u32 v0, vcc_lo, s2, v13
	v_add_co_ci_u32_e64 v2, null, s3, v14, vcc_lo
	v_add_co_u32 v6, vcc_lo, v0, v12
	v_add_co_ci_u32_e64 v7, null, 0, v2, vcc_lo
	v_mul_lo_u32 v0, v3, 24
	v_lshl_add_u32 v2, v3, 3, v12
	global_load_dwordx2 v[6:7], v[6:7], off
	v_lshl_add_u32 v0, v1, 3, v0
	s_waitcnt vmcnt(0)
	ds_write_b64 v0, v[6:7] offset:1024
	ds_write_b64 v2, v[6:7] offset:1120
.LBB3_3:
	s_or_b32 exec_lo, exec_lo, s0
	s_waitcnt lgkmcnt(0)
	v_add_co_u32 v6, vcc_lo, s8, v13
	v_add_co_ci_u32_e64 v7, null, s9, v14, vcc_lo
	v_mul_lo_u32 v0, v1, 24
	v_cmp_lt_u32_e32 vcc_lo, 2, v5
	v_cmp_lt_u32_e64 s1, 2, v1
	v_mad_u64_u32 v[6:7], null, v1, 24, v[6:7]
	s_mul_i32 s9, s6, 0x288
	v_cmp_lt_u32_e64 s0, 2, v3
	s_mul_hi_u32 s8, s6, 0x288
	v_mad_u32_u24 v4, 0x48, v5, v0
	s_or_b32 s3, vcc_lo, s1
	s_nor_b32 s4, s3, s0
	v_mad_u64_u32 v[6:7], null, 0x48, v5, v[6:7]
	v_lshl_add_u32 v15, v3, 3, v4
	v_add_co_u32 v8, s2, v6, s9
	v_add_co_ci_u32_e64 v9, null, s8, v7, s2
	s_and_saveexec_b32 s2, s4
	s_cbranch_execz .LBB3_5
; %bb.4:
	global_load_dwordx2 v[6:7], v[8:9], off
	s_waitcnt vmcnt(0)
	ds_write_b64 v15, v[6:7]
.LBB3_5:
	s_or_b32 exec_lo, exec_lo, s2
	s_movk_i32 s5, 0x60
	v_lshlrev_b32_e32 v25, 3, v3
	v_mad_u32_u24 v20, v5, s5, 0x200
	v_mad_u64_u32 v[6:7], null, v3, 24, 0x400
	v_cmp_lt_u32_e64 s2, 3, v3
	v_mul_u32_u24_e32 v26, 0x48, v5
	v_add3_u32 v7, v20, v12, v25
	s_waitcnt lgkmcnt(0)
	s_barrier
	s_nor_b32 s5, s3, s2
	buffer_gl0_inv
	s_and_saveexec_b32 s3, s5
	s_cbranch_execz .LBB3_7
; %bb.6:
	ds_read2_b64 v[16:19], v6 offset1:1
	ds_read2_b64 v[21:24], v4 offset1:1
	ds_read_b64 v[10:11], v4 offset:16
	ds_read_b64 v[27:28], v6 offset:16
	s_waitcnt lgkmcnt(2)
	v_fma_f64 v[16:17], v[21:22], v[16:17], 0
	v_fma_f64 v[16:17], v[23:24], v[18:19], v[16:17]
	s_waitcnt lgkmcnt(0)
	v_fma_f64 v[10:11], v[10:11], v[27:28], v[16:17]
	ds_write_b64 v7, v[10:11]
.LBB3_7:
	s_or_b32 exec_lo, exec_lo, s3
	v_mad_u32_u24 v21, v5, 56, v26
	v_cmp_lt_u32_e64 s3, 3, v1
	v_mad_u64_u32 v[10:11], null, v1, 24, 0x400
	v_add_nc_u32_e32 v17, v20, v25
	v_add3_u32 v16, v21, v12, v25
	s_or_b32 s3, vcc_lo, s3
	s_waitcnt lgkmcnt(0)
	s_nor_b32 s3, s3, s2
	s_barrier
	buffer_gl0_inv
	s_and_saveexec_b32 s2, s3
	s_cbranch_execz .LBB3_9
; %bb.8:
	ds_read2_b64 v[27:30], v17 offset1:4
	ds_read2_b64 v[31:34], v10 offset1:1
	ds_read_b64 v[18:19], v17 offset:64
	s_waitcnt lgkmcnt(1)
	v_fma_f64 v[22:23], v[27:28], v[31:32], 0
	ds_read_b64 v[27:28], v10 offset:16
	v_fma_f64 v[22:23], v[29:30], v[33:34], v[22:23]
	s_waitcnt lgkmcnt(0)
	v_fma_f64 v[18:19], v[18:19], v[27:28], v[22:23]
	ds_write_b64 v16, v[18:19]
.LBB3_9:
	s_or_b32 exec_lo, exec_lo, s2
	v_lshlrev_b32_e32 v23, 5, v5
	v_mov_b32_e32 v2, 0
	v_add_nc_u32_e32 v19, v12, v25
	v_lshlrev_b32_e32 v11, 7, v5
	v_or_b32_e32 v24, v5, v1
	v_add_nc_u32_e32 v22, v20, v23
	v_lshlrev_b64 v[27:28], 5, v[1:2]
	s_lshl_b64 s[6:7], s[6:7], 9
	v_mad_u32_u24 v18, v5, 24, 0x400
	s_waitcnt lgkmcnt(0)
	v_add_nc_u32_e32 v2, v22, v12
	v_add_co_u32 v12, vcc_lo, s10, v13
	v_add_co_ci_u32_e64 v29, null, s11, v14, vcc_lo
	v_add_nc_u32_e32 v20, v2, v25
	v_add_co_u32 v12, vcc_lo, v12, v27
	v_add_co_ci_u32_e64 v27, null, v29, v28, vcc_lo
	v_or_b32_e32 v28, v24, v3
	v_add_co_u32 v11, vcc_lo, v12, v11
	v_add_co_ci_u32_e64 v12, null, 0, v27, vcc_lo
	v_cmp_gt_u32_e32 vcc_lo, 4, v28
	v_add_co_u32 v11, s2, v11, s6
	v_add_co_ci_u32_e64 v12, null, s7, v12, s2
	s_barrier
	buffer_gl0_inv
	s_and_saveexec_b32 s2, vcc_lo
	s_cbranch_execz .LBB3_11
; %bb.10:
	global_load_dwordx2 v[35:36], v[11:12], off
	ds_read2_b64 v[27:30], v19 offset1:16
	ds_read2_b64 v[31:34], v18 offset1:1
	ds_read_b64 v[37:38], v19 offset:256
	s_waitcnt lgkmcnt(1)
	v_fma_f64 v[27:28], v[27:28], v[31:32], 0
	v_fma_f64 v[27:28], v[29:30], v[33:34], v[27:28]
	ds_read_b64 v[29:30], v18 offset:16
	s_waitcnt lgkmcnt(0)
	v_fma_f64 v[27:28], v[37:38], v[29:30], v[27:28]
	s_waitcnt vmcnt(0)
	v_mul_f64 v[27:28], v[35:36], v[27:28]
	ds_write_b64 v20, v[27:28]
.LBB3_11:
	s_or_b32 exec_lo, exec_lo, s2
	v_sub_nc_u32_e32 v23, v21, v23
	v_cmp_gt_u32_e64 s2, 4, v24
	v_mul_hi_u32_u24_e32 v27, 24, v1
	v_mul_u32_u24_e32 v28, 24, v1
	v_mul_hi_u32_u24_e32 v29, 0x48, v5
	v_lshl_add_u32 v21, v3, 5, 0x460
	v_add3_u32 v3, v23, v0, v25
	s_xor_b32 s6, s0, -1
	s_waitcnt lgkmcnt(0)
	s_and_b32 s6, s2, s6
	s_barrier
	buffer_gl0_inv
	s_and_saveexec_b32 s2, s6
	s_cbranch_execz .LBB3_13
; %bb.12:
	ds_read_b128 v[30:33], v21
	ds_read_b128 v[34:37], v2
	ds_read_b128 v[38:41], v2 offset:16
	ds_read_b128 v[42:45], v21 offset:16
	s_waitcnt lgkmcnt(2)
	v_fma_f64 v[30:31], v[34:35], v[30:31], 0
	v_fma_f64 v[30:31], v[36:37], v[32:33], v[30:31]
	s_waitcnt lgkmcnt(0)
	v_fma_f64 v[30:31], v[38:39], v[42:43], v[30:31]
	v_fma_f64 v[30:31], v[40:41], v[44:45], v[30:31]
	ds_write_b64 v3, v[30:31]
.LBB3_13:
	s_or_b32 exec_lo, exec_lo, s2
	v_mad_i32_i24 v22, 0xffffffc8, v5, v22
	v_cmp_lt_u32_e64 s2, 3, v5
	v_add_nc_u32_e32 v23, v23, v25
	v_lshl_add_u32 v24, v1, 5, 0x460
	s_waitcnt lgkmcnt(0)
	v_add3_u32 v22, v22, v0, v25
	s_or_b32 s1, s2, s1
	s_barrier
	s_nor_b32 s1, s1, s0
	buffer_gl0_inv
	s_and_saveexec_b32 s0, s1
	s_cbranch_execz .LBB3_15
; %bb.14:
	ds_read2_b64 v[30:33], v23 offset1:3
	ds_read_b128 v[34:37], v24
	ds_read_b128 v[38:41], v24 offset:16
	s_waitcnt lgkmcnt(1)
	v_fma_f64 v[30:31], v[30:31], v[34:35], 0
	v_fma_f64 v[34:35], v[32:33], v[36:37], v[30:31]
	ds_read2_b64 v[30:33], v23 offset0:6 offset1:9
	s_waitcnt lgkmcnt(0)
	v_fma_f64 v[30:31], v[30:31], v[38:39], v[34:35]
	v_fma_f64 v[30:31], v[32:33], v[40:41], v[30:31]
	ds_write_b64 v22, v[30:31]
.LBB3_15:
	s_or_b32 exec_lo, exec_lo, s0
	v_add_co_u32 v1, s0, s12, v13
	v_add_co_ci_u32_e64 v13, null, s13, v14, s0
	v_lshl_add_u32 v5, v5, 5, 0x460
	v_add_co_u32 v1, s0, v1, v28
	v_add_co_ci_u32_e64 v14, null, v13, v27, s0
	v_add3_u32 v13, v0, v25, 0x200
	v_add_co_u32 v0, s0, v1, v26
	v_add_co_ci_u32_e64 v1, null, v14, v29, s0
	s_waitcnt lgkmcnt(0)
	v_add_co_u32 v0, s0, v0, s9
	v_add_co_ci_u32_e64 v1, null, s8, v1, s0
	s_barrier
	buffer_gl0_inv
	s_and_saveexec_b32 s0, s4
	s_cbranch_execz .LBB3_17
; %bb.16:
	ds_read2_b64 v[25:28], v13 offset1:9
	ds_read_b128 v[29:32], v5
	ds_read_b128 v[33:36], v5 offset:16
	s_waitcnt lgkmcnt(1)
	v_fma_f64 v[25:26], v[25:26], v[29:30], 0
	v_fma_f64 v[29:30], v[27:28], v[31:32], v[25:26]
	ds_read2_b64 v[25:28], v13 offset0:18 offset1:27
	s_waitcnt lgkmcnt(0)
	v_fma_f64 v[25:26], v[25:26], v[33:34], v[29:30]
	v_fma_f64 v[25:26], v[27:28], v[35:36], v[25:26]
	global_store_dwordx2 v[0:1], v[25:26], off
.LBB3_17:
	s_or_b32 exec_lo, exec_lo, s0
	s_waitcnt_vscnt null, 0x0
	s_barrier
	buffer_gl0_inv
	s_and_saveexec_b32 s0, s4
	s_cbranch_execz .LBB3_19
; %bb.18:
	global_load_dwordx2 v[25:26], v[8:9], off offset:216
	s_waitcnt vmcnt(0)
	ds_write_b64 v15, v[25:26]
.LBB3_19:
	s_or_b32 exec_lo, exec_lo, s0
	s_waitcnt lgkmcnt(0)
	s_barrier
	buffer_gl0_inv
	s_and_saveexec_b32 s0, s5
	s_cbranch_execz .LBB3_21
; %bb.20:
	ds_read2_b64 v[25:28], v6 offset1:1
	ds_read2_b64 v[29:32], v4 offset1:1
	ds_read_b64 v[33:34], v4 offset:16
	ds_read_b64 v[35:36], v6 offset:16
	s_waitcnt lgkmcnt(2)
	v_fma_f64 v[25:26], v[29:30], v[25:26], 0
	v_fma_f64 v[25:26], v[31:32], v[27:28], v[25:26]
	s_waitcnt lgkmcnt(0)
	v_fma_f64 v[25:26], v[33:34], v[35:36], v[25:26]
	ds_write_b64 v7, v[25:26]
.LBB3_21:
	s_or_b32 exec_lo, exec_lo, s0
	s_waitcnt lgkmcnt(0)
	s_barrier
	buffer_gl0_inv
	s_and_saveexec_b32 s0, s3
	s_cbranch_execz .LBB3_23
; %bb.22:
	ds_read2_b64 v[25:28], v17 offset1:4
	ds_read2_b64 v[29:32], v10 offset1:1
	ds_read_b64 v[33:34], v17 offset:64
	s_waitcnt lgkmcnt(1)
	v_fma_f64 v[25:26], v[25:26], v[29:30], 0
	v_fma_f64 v[25:26], v[27:28], v[31:32], v[25:26]
	ds_read_b64 v[27:28], v10 offset:16
	s_waitcnt lgkmcnt(0)
	v_fma_f64 v[25:26], v[33:34], v[27:28], v[25:26]
	ds_write_b64 v16, v[25:26]
.LBB3_23:
	s_or_b32 exec_lo, exec_lo, s0
	s_waitcnt lgkmcnt(0)
	s_barrier
	buffer_gl0_inv
	s_and_saveexec_b32 s0, vcc_lo
	s_cbranch_execz .LBB3_25
; %bb.24:
	global_load_dwordx2 v[33:34], v[11:12], off
	ds_read2_b64 v[25:28], v19 offset1:16
	ds_read2_b64 v[29:32], v18 offset1:1
	ds_read_b64 v[35:36], v19 offset:256
	s_waitcnt lgkmcnt(1)
	v_fma_f64 v[25:26], v[25:26], v[29:30], 0
	v_fma_f64 v[25:26], v[27:28], v[31:32], v[25:26]
	ds_read_b64 v[27:28], v18 offset:16
	s_waitcnt lgkmcnt(0)
	v_fma_f64 v[25:26], v[35:36], v[27:28], v[25:26]
	s_waitcnt vmcnt(0)
	v_mul_f64 v[25:26], v[33:34], v[25:26]
	ds_write_b64 v20, v[25:26]
.LBB3_25:
	s_or_b32 exec_lo, exec_lo, s0
	s_waitcnt lgkmcnt(0)
	s_barrier
	buffer_gl0_inv
	s_and_saveexec_b32 s0, s6
	s_cbranch_execz .LBB3_27
; %bb.26:
	ds_read_b128 v[25:28], v21
	ds_read_b128 v[29:32], v2
	ds_read_b128 v[33:36], v2 offset:16
	ds_read_b128 v[37:40], v21 offset:16
	s_waitcnt lgkmcnt(2)
	v_fma_f64 v[25:26], v[29:30], v[25:26], 0
	v_fma_f64 v[25:26], v[31:32], v[27:28], v[25:26]
	s_waitcnt lgkmcnt(0)
	v_fma_f64 v[25:26], v[33:34], v[37:38], v[25:26]
	v_fma_f64 v[25:26], v[35:36], v[39:40], v[25:26]
	ds_write_b64 v3, v[25:26]
.LBB3_27:
	s_or_b32 exec_lo, exec_lo, s0
	s_waitcnt lgkmcnt(0)
	s_barrier
	buffer_gl0_inv
	s_and_saveexec_b32 s0, s1
	s_cbranch_execz .LBB3_29
; %bb.28:
	ds_read2_b64 v[25:28], v23 offset1:3
	ds_read_b128 v[29:32], v24
	ds_read_b128 v[33:36], v24 offset:16
	s_waitcnt lgkmcnt(1)
	v_fma_f64 v[25:26], v[25:26], v[29:30], 0
	v_fma_f64 v[29:30], v[27:28], v[31:32], v[25:26]
	ds_read2_b64 v[25:28], v23 offset0:6 offset1:9
	s_waitcnt lgkmcnt(0)
	v_fma_f64 v[25:26], v[25:26], v[33:34], v[29:30]
	v_fma_f64 v[25:26], v[27:28], v[35:36], v[25:26]
	ds_write_b64 v22, v[25:26]
.LBB3_29:
	s_or_b32 exec_lo, exec_lo, s0
	s_waitcnt lgkmcnt(0)
	s_barrier
	buffer_gl0_inv
	s_and_saveexec_b32 s0, s4
	s_cbranch_execz .LBB3_31
; %bb.30:
	ds_read2_b64 v[25:28], v13 offset1:9
	ds_read_b128 v[29:32], v5
	ds_read_b128 v[33:36], v5 offset:16
	s_waitcnt lgkmcnt(1)
	v_fma_f64 v[25:26], v[25:26], v[29:30], 0
	v_fma_f64 v[29:30], v[27:28], v[31:32], v[25:26]
	ds_read2_b64 v[25:28], v13 offset0:18 offset1:27
	s_waitcnt lgkmcnt(0)
	v_fma_f64 v[25:26], v[25:26], v[33:34], v[29:30]
	v_fma_f64 v[25:26], v[27:28], v[35:36], v[25:26]
	global_store_dwordx2 v[0:1], v[25:26], off offset:216
.LBB3_31:
	s_or_b32 exec_lo, exec_lo, s0
	s_waitcnt_vscnt null, 0x0
	s_barrier
	buffer_gl0_inv
	s_and_saveexec_b32 s0, s4
	s_cbranch_execz .LBB3_33
; %bb.32:
	global_load_dwordx2 v[8:9], v[8:9], off offset:432
	s_waitcnt vmcnt(0)
	ds_write_b64 v15, v[8:9]
.LBB3_33:
	s_or_b32 exec_lo, exec_lo, s0
	s_waitcnt lgkmcnt(0)
	s_barrier
	buffer_gl0_inv
	s_and_saveexec_b32 s0, s5
	s_cbranch_execz .LBB3_35
; %bb.34:
	ds_read2_b64 v[25:28], v6 offset1:1
	ds_read2_b64 v[29:32], v4 offset1:1
	ds_read_b64 v[8:9], v4 offset:16
	ds_read_b64 v[14:15], v6 offset:16
	s_waitcnt lgkmcnt(2)
	v_fma_f64 v[25:26], v[29:30], v[25:26], 0
	v_fma_f64 v[25:26], v[31:32], v[27:28], v[25:26]
	s_waitcnt lgkmcnt(0)
	v_fma_f64 v[8:9], v[8:9], v[14:15], v[25:26]
	ds_write_b64 v7, v[8:9]
.LBB3_35:
	s_or_b32 exec_lo, exec_lo, s0
	s_waitcnt lgkmcnt(0)
	s_barrier
	buffer_gl0_inv
	s_and_saveexec_b32 s0, s3
	s_cbranch_execz .LBB3_37
; %bb.36:
	ds_read2_b64 v[6:9], v17 offset1:4
	ds_read2_b64 v[25:28], v10 offset1:1
	ds_read_b64 v[14:15], v17 offset:64
	s_waitcnt lgkmcnt(1)
	v_fma_f64 v[6:7], v[6:7], v[25:26], 0
	v_fma_f64 v[6:7], v[8:9], v[27:28], v[6:7]
	ds_read_b64 v[8:9], v10 offset:16
	s_waitcnt lgkmcnt(0)
	v_fma_f64 v[6:7], v[14:15], v[8:9], v[6:7]
	ds_write_b64 v16, v[6:7]
.LBB3_37:
	s_or_b32 exec_lo, exec_lo, s0
	s_waitcnt lgkmcnt(0)
	s_barrier
	buffer_gl0_inv
	s_and_saveexec_b32 s0, vcc_lo
	s_cbranch_execz .LBB3_39
; %bb.38:
	global_load_dwordx2 v[10:11], v[11:12], off
	ds_read2_b64 v[6:9], v19 offset1:16
	ds_read2_b64 v[14:17], v18 offset1:1
	ds_read_b64 v[25:26], v19 offset:256
	s_waitcnt lgkmcnt(1)
	v_fma_f64 v[6:7], v[6:7], v[14:15], 0
	v_fma_f64 v[6:7], v[8:9], v[16:17], v[6:7]
	ds_read_b64 v[8:9], v18 offset:16
	s_waitcnt lgkmcnt(0)
	v_fma_f64 v[6:7], v[25:26], v[8:9], v[6:7]
	s_waitcnt vmcnt(0)
	v_mul_f64 v[6:7], v[10:11], v[6:7]
	ds_write_b64 v20, v[6:7]
.LBB3_39:
	s_or_b32 exec_lo, exec_lo, s0
	s_waitcnt lgkmcnt(0)
	s_barrier
	buffer_gl0_inv
	s_and_saveexec_b32 s0, s6
	s_cbranch_execz .LBB3_41
; %bb.40:
	ds_read_b128 v[6:9], v21
	ds_read_b128 v[14:17], v2
	ds_read_b128 v[25:28], v2 offset:16
	ds_read_b128 v[18:21], v21 offset:16
	s_waitcnt lgkmcnt(2)
	v_fma_f64 v[6:7], v[14:15], v[6:7], 0
	v_fma_f64 v[6:7], v[16:17], v[8:9], v[6:7]
	s_waitcnt lgkmcnt(0)
	v_fma_f64 v[6:7], v[25:26], v[18:19], v[6:7]
	v_fma_f64 v[6:7], v[27:28], v[20:21], v[6:7]
	ds_write_b64 v3, v[6:7]
.LBB3_41:
	s_or_b32 exec_lo, exec_lo, s0
	s_waitcnt lgkmcnt(0)
	s_barrier
	buffer_gl0_inv
	s_and_saveexec_b32 s0, s1
	s_cbranch_execz .LBB3_43
; %bb.42:
	ds_read2_b64 v[6:9], v23 offset1:3
	ds_read_b128 v[14:17], v24
	ds_read_b128 v[18:21], v24 offset:16
	s_waitcnt lgkmcnt(1)
	v_fma_f64 v[2:3], v[6:7], v[14:15], 0
	v_fma_f64 v[2:3], v[8:9], v[16:17], v[2:3]
	ds_read2_b64 v[6:9], v23 offset0:6 offset1:9
	s_waitcnt lgkmcnt(0)
	v_fma_f64 v[2:3], v[6:7], v[18:19], v[2:3]
	v_fma_f64 v[2:3], v[8:9], v[20:21], v[2:3]
	ds_write_b64 v22, v[2:3]
.LBB3_43:
	s_or_b32 exec_lo, exec_lo, s0
	s_waitcnt lgkmcnt(0)
	s_barrier
	buffer_gl0_inv
	s_and_saveexec_b32 s0, s4
	s_cbranch_execz .LBB3_45
; %bb.44:
	ds_read2_b64 v[6:9], v13 offset1:9
	ds_read_b128 v[14:17], v5
	ds_read_b128 v[2:5], v5 offset:16
	s_waitcnt lgkmcnt(1)
	v_fma_f64 v[6:7], v[6:7], v[14:15], 0
	v_fma_f64 v[10:11], v[8:9], v[16:17], v[6:7]
	ds_read2_b64 v[6:9], v13 offset0:18 offset1:27
	s_waitcnt lgkmcnt(0)
	v_fma_f64 v[2:3], v[6:7], v[2:3], v[10:11]
	v_fma_f64 v[2:3], v[8:9], v[4:5], v[2:3]
	global_store_dwordx2 v[0:1], v[2:3], off offset:432
.LBB3_45:
	s_or_b32 exec_lo, exec_lo, s0
	s_waitcnt_vscnt null, 0x0
	s_barrier
	buffer_gl0_inv
.LBB3_46:
	s_endpgm
	.section	.rodata,"a",@progbits
	.p2align	6, 0x0
	.amdhsa_kernel _ZN4RAJA34launch_new_reduce_global_fcn_fixedIZN8rajaperf4apps11MASSVEC3DPA17runHipVariantImplILm64ELm1EEEvNS1_9VariantIDEEUlNS_14LaunchContextTINS_3hip33LaunchContextIndicesAndDimsPolicyINS7_14IndicesAndDimsILb0ELb0ELb0ELb0EEEEEEEE_Li64ENS_4expt15ForallParamPackIJEEEEEvT_T1_
		.amdhsa_group_segment_fixed_size 1216
		.amdhsa_private_segment_fixed_size 0
		.amdhsa_kernarg_size 44
		.amdhsa_user_sgpr_count 6
		.amdhsa_user_sgpr_private_segment_buffer 1
		.amdhsa_user_sgpr_dispatch_ptr 0
		.amdhsa_user_sgpr_queue_ptr 0
		.amdhsa_user_sgpr_kernarg_segment_ptr 1
		.amdhsa_user_sgpr_dispatch_id 0
		.amdhsa_user_sgpr_flat_scratch_init 0
		.amdhsa_user_sgpr_private_segment_size 0
		.amdhsa_wavefront_size32 1
		.amdhsa_uses_dynamic_stack 0
		.amdhsa_system_sgpr_private_segment_wavefront_offset 0
		.amdhsa_system_sgpr_workgroup_id_x 1
		.amdhsa_system_sgpr_workgroup_id_y 0
		.amdhsa_system_sgpr_workgroup_id_z 0
		.amdhsa_system_sgpr_workgroup_info 0
		.amdhsa_system_vgpr_workitem_id 2
		.amdhsa_next_free_vgpr 46
		.amdhsa_next_free_sgpr 14
		.amdhsa_reserve_vcc 1
		.amdhsa_reserve_flat_scratch 0
		.amdhsa_float_round_mode_32 0
		.amdhsa_float_round_mode_16_64 0
		.amdhsa_float_denorm_mode_32 3
		.amdhsa_float_denorm_mode_16_64 3
		.amdhsa_dx10_clamp 1
		.amdhsa_ieee_mode 1
		.amdhsa_fp16_overflow 0
		.amdhsa_workgroup_processor_mode 1
		.amdhsa_memory_ordered 1
		.amdhsa_forward_progress 1
		.amdhsa_shared_vgpr_count 0
		.amdhsa_exception_fp_ieee_invalid_op 0
		.amdhsa_exception_fp_denorm_src 0
		.amdhsa_exception_fp_ieee_div_zero 0
		.amdhsa_exception_fp_ieee_overflow 0
		.amdhsa_exception_fp_ieee_underflow 0
		.amdhsa_exception_fp_ieee_inexact 0
		.amdhsa_exception_int_div_zero 0
	.end_amdhsa_kernel
	.section	.text._ZN4RAJA34launch_new_reduce_global_fcn_fixedIZN8rajaperf4apps11MASSVEC3DPA17runHipVariantImplILm64ELm1EEEvNS1_9VariantIDEEUlNS_14LaunchContextTINS_3hip33LaunchContextIndicesAndDimsPolicyINS7_14IndicesAndDimsILb0ELb0ELb0ELb0EEEEEEEE_Li64ENS_4expt15ForallParamPackIJEEEEEvT_T1_,"axG",@progbits,_ZN4RAJA34launch_new_reduce_global_fcn_fixedIZN8rajaperf4apps11MASSVEC3DPA17runHipVariantImplILm64ELm1EEEvNS1_9VariantIDEEUlNS_14LaunchContextTINS_3hip33LaunchContextIndicesAndDimsPolicyINS7_14IndicesAndDimsILb0ELb0ELb0ELb0EEEEEEEE_Li64ENS_4expt15ForallParamPackIJEEEEEvT_T1_,comdat
.Lfunc_end3:
	.size	_ZN4RAJA34launch_new_reduce_global_fcn_fixedIZN8rajaperf4apps11MASSVEC3DPA17runHipVariantImplILm64ELm1EEEvNS1_9VariantIDEEUlNS_14LaunchContextTINS_3hip33LaunchContextIndicesAndDimsPolicyINS7_14IndicesAndDimsILb0ELb0ELb0ELb0EEEEEEEE_Li64ENS_4expt15ForallParamPackIJEEEEEvT_T1_, .Lfunc_end3-_ZN4RAJA34launch_new_reduce_global_fcn_fixedIZN8rajaperf4apps11MASSVEC3DPA17runHipVariantImplILm64ELm1EEEvNS1_9VariantIDEEUlNS_14LaunchContextTINS_3hip33LaunchContextIndicesAndDimsPolicyINS7_14IndicesAndDimsILb0ELb0ELb0ELb0EEEEEEEE_Li64ENS_4expt15ForallParamPackIJEEEEEvT_T1_
                                        ; -- End function
	.set _ZN4RAJA34launch_new_reduce_global_fcn_fixedIZN8rajaperf4apps11MASSVEC3DPA17runHipVariantImplILm64ELm1EEEvNS1_9VariantIDEEUlNS_14LaunchContextTINS_3hip33LaunchContextIndicesAndDimsPolicyINS7_14IndicesAndDimsILb0ELb0ELb0ELb0EEEEEEEE_Li64ENS_4expt15ForallParamPackIJEEEEEvT_T1_.num_vgpr, 46
	.set _ZN4RAJA34launch_new_reduce_global_fcn_fixedIZN8rajaperf4apps11MASSVEC3DPA17runHipVariantImplILm64ELm1EEEvNS1_9VariantIDEEUlNS_14LaunchContextTINS_3hip33LaunchContextIndicesAndDimsPolicyINS7_14IndicesAndDimsILb0ELb0ELb0ELb0EEEEEEEE_Li64ENS_4expt15ForallParamPackIJEEEEEvT_T1_.num_agpr, 0
	.set _ZN4RAJA34launch_new_reduce_global_fcn_fixedIZN8rajaperf4apps11MASSVEC3DPA17runHipVariantImplILm64ELm1EEEvNS1_9VariantIDEEUlNS_14LaunchContextTINS_3hip33LaunchContextIndicesAndDimsPolicyINS7_14IndicesAndDimsILb0ELb0ELb0ELb0EEEEEEEE_Li64ENS_4expt15ForallParamPackIJEEEEEvT_T1_.numbered_sgpr, 14
	.set _ZN4RAJA34launch_new_reduce_global_fcn_fixedIZN8rajaperf4apps11MASSVEC3DPA17runHipVariantImplILm64ELm1EEEvNS1_9VariantIDEEUlNS_14LaunchContextTINS_3hip33LaunchContextIndicesAndDimsPolicyINS7_14IndicesAndDimsILb0ELb0ELb0ELb0EEEEEEEE_Li64ENS_4expt15ForallParamPackIJEEEEEvT_T1_.num_named_barrier, 0
	.set _ZN4RAJA34launch_new_reduce_global_fcn_fixedIZN8rajaperf4apps11MASSVEC3DPA17runHipVariantImplILm64ELm1EEEvNS1_9VariantIDEEUlNS_14LaunchContextTINS_3hip33LaunchContextIndicesAndDimsPolicyINS7_14IndicesAndDimsILb0ELb0ELb0ELb0EEEEEEEE_Li64ENS_4expt15ForallParamPackIJEEEEEvT_T1_.private_seg_size, 0
	.set _ZN4RAJA34launch_new_reduce_global_fcn_fixedIZN8rajaperf4apps11MASSVEC3DPA17runHipVariantImplILm64ELm1EEEvNS1_9VariantIDEEUlNS_14LaunchContextTINS_3hip33LaunchContextIndicesAndDimsPolicyINS7_14IndicesAndDimsILb0ELb0ELb0ELb0EEEEEEEE_Li64ENS_4expt15ForallParamPackIJEEEEEvT_T1_.uses_vcc, 1
	.set _ZN4RAJA34launch_new_reduce_global_fcn_fixedIZN8rajaperf4apps11MASSVEC3DPA17runHipVariantImplILm64ELm1EEEvNS1_9VariantIDEEUlNS_14LaunchContextTINS_3hip33LaunchContextIndicesAndDimsPolicyINS7_14IndicesAndDimsILb0ELb0ELb0ELb0EEEEEEEE_Li64ENS_4expt15ForallParamPackIJEEEEEvT_T1_.uses_flat_scratch, 0
	.set _ZN4RAJA34launch_new_reduce_global_fcn_fixedIZN8rajaperf4apps11MASSVEC3DPA17runHipVariantImplILm64ELm1EEEvNS1_9VariantIDEEUlNS_14LaunchContextTINS_3hip33LaunchContextIndicesAndDimsPolicyINS7_14IndicesAndDimsILb0ELb0ELb0ELb0EEEEEEEE_Li64ENS_4expt15ForallParamPackIJEEEEEvT_T1_.has_dyn_sized_stack, 0
	.set _ZN4RAJA34launch_new_reduce_global_fcn_fixedIZN8rajaperf4apps11MASSVEC3DPA17runHipVariantImplILm64ELm1EEEvNS1_9VariantIDEEUlNS_14LaunchContextTINS_3hip33LaunchContextIndicesAndDimsPolicyINS7_14IndicesAndDimsILb0ELb0ELb0ELb0EEEEEEEE_Li64ENS_4expt15ForallParamPackIJEEEEEvT_T1_.has_recursion, 0
	.set _ZN4RAJA34launch_new_reduce_global_fcn_fixedIZN8rajaperf4apps11MASSVEC3DPA17runHipVariantImplILm64ELm1EEEvNS1_9VariantIDEEUlNS_14LaunchContextTINS_3hip33LaunchContextIndicesAndDimsPolicyINS7_14IndicesAndDimsILb0ELb0ELb0ELb0EEEEEEEE_Li64ENS_4expt15ForallParamPackIJEEEEEvT_T1_.has_indirect_call, 0
	.section	.AMDGPU.csdata,"",@progbits
; Kernel info:
; codeLenInByte = 2852
; TotalNumSgprs: 16
; NumVgprs: 46
; ScratchSize: 0
; MemoryBound: 1
; FloatMode: 240
; IeeeMode: 1
; LDSByteSize: 1216 bytes/workgroup (compile time only)
; SGPRBlocks: 0
; VGPRBlocks: 5
; NumSGPRsForWavesPerEU: 16
; NumVGPRsForWavesPerEU: 46
; Occupancy: 16
; WaveLimiterHint : 0
; COMPUTE_PGM_RSRC2:SCRATCH_EN: 0
; COMPUTE_PGM_RSRC2:USER_SGPR: 6
; COMPUTE_PGM_RSRC2:TRAP_HANDLER: 0
; COMPUTE_PGM_RSRC2:TGID_X_EN: 1
; COMPUTE_PGM_RSRC2:TGID_Y_EN: 0
; COMPUTE_PGM_RSRC2:TGID_Z_EN: 0
; COMPUTE_PGM_RSRC2:TIDIG_COMP_CNT: 2
	.section	.text._ZN4RAJA34launch_new_reduce_global_fcn_fixedIZN8rajaperf4apps11MASSVEC3DPA17runHipVariantImplILm64ELm2EEEvNS1_9VariantIDEEUlNS_14LaunchContextTINS_3hip33LaunchContextIndicesAndDimsPolicyINS7_14IndicesAndDimsILb0ELb0ELb1ELb0EEEEEEEE_Li64ENS_4expt15ForallParamPackIJEEEEEvT_T1_,"axG",@progbits,_ZN4RAJA34launch_new_reduce_global_fcn_fixedIZN8rajaperf4apps11MASSVEC3DPA17runHipVariantImplILm64ELm2EEEvNS1_9VariantIDEEUlNS_14LaunchContextTINS_3hip33LaunchContextIndicesAndDimsPolicyINS7_14IndicesAndDimsILb0ELb0ELb1ELb0EEEEEEEE_Li64ENS_4expt15ForallParamPackIJEEEEEvT_T1_,comdat
	.protected	_ZN4RAJA34launch_new_reduce_global_fcn_fixedIZN8rajaperf4apps11MASSVEC3DPA17runHipVariantImplILm64ELm2EEEvNS1_9VariantIDEEUlNS_14LaunchContextTINS_3hip33LaunchContextIndicesAndDimsPolicyINS7_14IndicesAndDimsILb0ELb0ELb1ELb0EEEEEEEE_Li64ENS_4expt15ForallParamPackIJEEEEEvT_T1_ ; -- Begin function _ZN4RAJA34launch_new_reduce_global_fcn_fixedIZN8rajaperf4apps11MASSVEC3DPA17runHipVariantImplILm64ELm2EEEvNS1_9VariantIDEEUlNS_14LaunchContextTINS_3hip33LaunchContextIndicesAndDimsPolicyINS7_14IndicesAndDimsILb0ELb0ELb1ELb0EEEEEEEE_Li64ENS_4expt15ForallParamPackIJEEEEEvT_T1_
	.globl	_ZN4RAJA34launch_new_reduce_global_fcn_fixedIZN8rajaperf4apps11MASSVEC3DPA17runHipVariantImplILm64ELm2EEEvNS1_9VariantIDEEUlNS_14LaunchContextTINS_3hip33LaunchContextIndicesAndDimsPolicyINS7_14IndicesAndDimsILb0ELb0ELb1ELb0EEEEEEEE_Li64ENS_4expt15ForallParamPackIJEEEEEvT_T1_
	.p2align	8
	.type	_ZN4RAJA34launch_new_reduce_global_fcn_fixedIZN8rajaperf4apps11MASSVEC3DPA17runHipVariantImplILm64ELm2EEEvNS1_9VariantIDEEUlNS_14LaunchContextTINS_3hip33LaunchContextIndicesAndDimsPolicyINS7_14IndicesAndDimsILb0ELb0ELb1ELb0EEEEEEEE_Li64ENS_4expt15ForallParamPackIJEEEEEvT_T1_,@function
_ZN4RAJA34launch_new_reduce_global_fcn_fixedIZN8rajaperf4apps11MASSVEC3DPA17runHipVariantImplILm64ELm2EEEvNS1_9VariantIDEEUlNS_14LaunchContextTINS_3hip33LaunchContextIndicesAndDimsPolicyINS7_14IndicesAndDimsILb0ELb0ELb1ELb0EEEEEEEE_Li64ENS_4expt15ForallParamPackIJEEEEEvT_T1_: ; @_ZN4RAJA34launch_new_reduce_global_fcn_fixedIZN8rajaperf4apps11MASSVEC3DPA17runHipVariantImplILm64ELm2EEEvNS1_9VariantIDEEUlNS_14LaunchContextTINS_3hip33LaunchContextIndicesAndDimsPolicyINS7_14IndicesAndDimsILb0ELb0ELb1ELb0EEEEEEEE_Li64ENS_4expt15ForallParamPackIJEEEEEvT_T1_
; %bb.0:
	s_load_dwordx8 s[8:15], s[4:5], 0x0
	s_mov_b32 s7, 0
	s_waitcnt lgkmcnt(0)
	v_cmp_le_i64_e64 s0, s[8:9], s[6:7]
	s_and_b32 vcc_lo, exec_lo, s0
	s_cbranch_vccnz .LBB4_78
; %bb.1:
	s_clause 0x1
	s_load_dwordx2 s[0:1], s[4:5], 0x3c
	s_load_dwordx2 s[8:9], s[4:5], 0x20
	v_mov_b32_e32 v4, v1
	v_lshlrev_b32_e32 v27, 3, v0
                                        ; implicit-def: $vgpr14_vgpr15
                                        ; implicit-def: $vgpr16_vgpr17
                                        ; implicit-def: $vgpr18_vgpr19
                                        ; implicit-def: $vgpr20_vgpr21
	v_lshlrev_b32_e32 v28, 5, v4
	s_waitcnt lgkmcnt(0)
	s_lshr_b32 s4, s0, 16
	s_and_b32 s16, s0, 0xffff
	s_mov_b32 s0, exec_lo
	v_cmpx_ne_u32_e32 0, v2
	s_xor_b32 s0, exec_lo, s0
                                        ; implicit-def: $vgpr29
                                        ; implicit-def: $vgpr30
	s_cbranch_execz .LBB4_3
; %bb.2:
	v_mov_b32_e32 v5, 0
	s_mov_b32 s5, 0
	s_lshl_b32 s2, s16, 3
	s_mov_b32 s3, s5
	s_mov_b32 s19, s5
	;; [unrolled: 1-line block ×3, first 2 shown]
	s_lshl_b32 s18, s4, 5
	v_mov_b32_e32 v21, s19
	v_mov_b32_e32 v19, s3
	;; [unrolled: 1-line block ×11, first 2 shown]
.LBB4_3:
	s_or_saveexec_b32 s3, s0
	s_and_b32 s20, s1, 0xffff
	s_xor_b32 exec_lo, exec_lo, s3
	s_cbranch_execz .LBB4_13
; %bb.4:
	v_add_co_u32 v3, s2, v28, v27
	v_mov_b32_e32 v5, 0
	v_add_co_ci_u32_e64 v7, null, 0, 0, s2
	v_mul_u32_u24_e32 v8, 24, v0
	v_lshlrev_b32_e32 v9, 3, v4
	v_add_co_u32 v6, vcc_lo, s10, v3
	v_cmp_gt_u32_e64 s0, 3, v4
	v_cmp_gt_u32_e64 s1, 4, v0
	v_mov_b32_e32 v1, v5
	v_mov_b32_e32 v30, v5
	;; [unrolled: 1-line block ×3, first 2 shown]
	v_add_co_ci_u32_e64 v7, null, s11, v7, vcc_lo
	v_add3_u32 v3, v28, v27, 0x460
	v_add3_u32 v16, v8, v9, 0x400
	s_mov_b32 s5, 0
	s_cmp_lg_u32 s20, 0
	s_mov_b32 s17, s5
	s_cselect_b32 s21, -1, 0
	s_lshl_b32 s10, s4, 5
	s_mov_b32 s11, s5
	s_lshl_b32 s18, s16, 3
	s_mov_b32 s19, s5
	s_lshl_b32 s22, s4, 3
	s_mul_i32 s23, s16, 24
	s_branch .LBB4_6
.LBB4_5:                                ;   in Loop: Header=BB4_6 Depth=1
	s_inst_prefetch 0x2
	s_or_b32 exec_lo, exec_lo, s24
	s_andn2_b32 vcc_lo, exec_lo, s21
	s_cbranch_vccz .LBB4_12
.LBB4_6:                                ; =>This Loop Header: Depth=1
                                        ;     Child Loop BB4_9 Depth 2
                                        ;       Child Loop BB4_11 Depth 3
	s_and_saveexec_b32 s24, s0
	s_cbranch_execz .LBB4_5
; %bb.7:                                ;   in Loop: Header=BB4_6 Depth=1
	v_mov_b32_e32 v9, v7
	v_mov_b32_e32 v11, v5
	;; [unrolled: 1-line block ×6, first 2 shown]
	s_mov_b32 s25, 0
	s_inst_prefetch 0x1
	s_branch .LBB4_9
	.p2align	6
.LBB4_8:                                ;   in Loop: Header=BB4_9 Depth=2
	s_or_b32 exec_lo, exec_lo, s2
	v_add_co_u32 v10, vcc_lo, v10, s4
	v_add_co_ci_u32_e64 v11, null, 0, v11, vcc_lo
	v_add_co_u32 v8, s2, v8, s10
	v_add_co_ci_u32_e64 v9, null, 0, v9, s2
	v_cmp_lt_u64_e32 vcc_lo, 2, v[10:11]
	v_add_nc_u32_e32 v18, s10, v18
	v_add_nc_u32_e32 v17, s22, v17
	s_or_b32 s25, vcc_lo, s25
	s_andn2_b32 exec_lo, exec_lo, s25
	s_cbranch_execz .LBB4_5
.LBB4_9:                                ;   Parent Loop BB4_6 Depth=1
                                        ; =>  This Loop Header: Depth=2
                                        ;       Child Loop BB4_11 Depth 3
	s_and_saveexec_b32 s2, s1
	s_cbranch_execz .LBB4_8
; %bb.10:                               ;   in Loop: Header=BB4_9 Depth=2
	v_mov_b32_e32 v13, v9
	v_mov_b32_e32 v15, v1
	;; [unrolled: 1-line block ×6, first 2 shown]
	s_mov_b32 s26, 0
	.p2align	6
.LBB4_11:                               ;   Parent Loop BB4_6 Depth=1
                                        ;     Parent Loop BB4_9 Depth=2
                                        ; =>    This Inner Loop Header: Depth=3
	global_load_dwordx2 v[21:22], v[12:13], off
	v_add_co_u32 v14, vcc_lo, v14, s16
	v_add_co_ci_u32_e64 v15, null, 0, v15, vcc_lo
	v_add_co_u32 v12, vcc_lo, v12, s18
	v_add_co_ci_u32_e64 v13, null, 0, v13, vcc_lo
	v_cmp_lt_u64_e32 vcc_lo, 3, v[14:15]
	s_waitcnt vmcnt(0)
	ds_write_b64 v19, v[21:22]
	ds_write_b64 v20, v[21:22]
	v_add_nc_u32_e32 v20, s18, v20
	v_add_nc_u32_e32 v19, s23, v19
	s_or_b32 s26, vcc_lo, s26
	s_andn2_b32 exec_lo, exec_lo, s26
	s_cbranch_execnz .LBB4_11
	s_branch .LBB4_8
.LBB4_12:
	v_mov_b32_e32 v15, s5
	v_mov_b32_e32 v16, s16
	;; [unrolled: 1-line block ×8, first 2 shown]
.LBB4_13:
	s_or_b32 exec_lo, exec_lo, s3
	v_mul_hi_u32_u24_e32 v7, 0x48, v2
	v_mul_u32_u24_e32 v6, 0x48, v2
	v_mad_u64_u32 v[22:23], null, v14, 24, 0
	s_lshl_b64 s[10:11], s[6:7], 9
	v_mul_lo_u32 v11, v4, 24
	v_mad_u64_u32 v[6:7], null, 0x288, s6, v[6:7]
	v_lshlrev_b32_e32 v12, 3, v0
	v_lshlrev_b32_e32 v13, 5, v4
	v_mov_b32_e32 v8, v23
	v_mad_u64_u32 v[25:26], null, v0, 24, 0x400
	v_mad_u32_u24 v42, 0x60, v2, v12
	v_mad_u64_u32 v[6:7], null, v4, 24, v[6:7]
	v_add_nc_u32_e32 v31, v11, v12
	v_add_nc_u32_e32 v48, v13, v12
	v_mov_b32_e32 v3, 0
	v_cmp_gt_u32_e64 s0, 4, v2
	v_cmp_gt_u32_e64 s1, 3, v4
	;; [unrolled: 1-line block ×3, first 2 shown]
	v_mad_u64_u32 v[9:10], null, v5, 24, v[7:8]
	v_add_co_u32 v6, s5, v6, v27
	v_cmp_gt_u32_e64 s3, 4, v0
	v_cmp_gt_u32_e64 s4, 4, v4
	v_lshlrev_b32_e32 v43, 3, v16
	v_add3_u32 v44, v42, v13, 0x200
	v_mad_u64_u32 v[7:8], null, v15, 24, v[8:9]
	v_add_co_ci_u32_e64 v8, null, v9, v29, s5
	v_add_co_u32 v23, s5, s12, v6
	v_mad_u32_u24 v45, 0x48, v2, v31
	v_add_co_ci_u32_e64 v24, null, s13, v8, s5
	v_mov_b32_e32 v46, v7
	v_lshlrev_b32_e32 v7, 7, v2
	v_lshlrev_b32_e32 v47, 5, v14
	v_add_nc_u32_e32 v50, v42, v11
	v_add_nc_u32_e32 v51, 0x200, v31
	s_mul_i32 s7, s20, 0x48
	v_add_co_u32 v9, s5, s10, v7
	v_add_co_ci_u32_e64 v10, null, s11, 0, s5
	v_add_nc_u32_e32 v49, v48, v7
	v_add_co_u32 v9, s5, v9, v28
	v_add_co_ci_u32_e64 v10, null, v10, v30, s5
	s_mul_i32 s10, s20, 0x60
	v_add_co_u32 v9, s5, v9, v27
	v_add_co_ci_u32_e64 v10, null, v10, v29, s5
	s_lshl_b32 s11, s20, 7
	v_add_co_u32 v26, s5, s14, v9
	v_add_co_ci_u32_e64 v27, null, s15, v10, s5
	v_add_co_u32 v28, s5, s8, v6
	v_add_co_ci_u32_e64 v29, null, s9, v8, s5
	s_mov_b64 s[8:9], 0
	v_cmp_gt_u32_e32 vcc_lo, 3, v2
	s_branch .LBB4_15
.LBB4_14:                               ;   in Loop: Header=BB4_15 Depth=1
	s_or_b32 exec_lo, exec_lo, s12
	v_add_co_u32 v23, s5, 0xd8, v23
	v_add_co_ci_u32_e64 v24, null, 0, v24, s5
	v_add_co_u32 v28, s5, 0xd8, v28
	s_add_u32 s8, s8, 1
	v_add_co_ci_u32_e64 v29, null, 0, v29, s5
	s_addc_u32 s9, s9, 0
	s_waitcnt_vscnt null, 0x0
	s_cmp_lg_u64 s[8:9], 3
	s_barrier
	buffer_gl0_inv
	s_cbranch_scc0 .LBB4_78
.LBB4_15:                               ; =>This Loop Header: Depth=1
                                        ;     Child Loop BB4_18 Depth 2
                                        ;       Child Loop BB4_21 Depth 3
                                        ;         Child Loop BB4_23 Depth 4
                                        ;     Child Loop BB4_27 Depth 2
                                        ;       Child Loop BB4_30 Depth 3
                                        ;         Child Loop BB4_32 Depth 4
	;; [unrolled: 3-line block ×7, first 2 shown]
	s_and_saveexec_b32 s12, vcc_lo
	s_cbranch_execz .LBB4_24
; %bb.16:                               ;   in Loop: Header=BB4_15 Depth=1
	v_mov_b32_e32 v6, v23
	v_mov_b32_e32 v9, v3
	;; [unrolled: 1-line block ×5, first 2 shown]
	s_mov_b32 s13, 0
	s_branch .LBB4_18
.LBB4_17:                               ;   in Loop: Header=BB4_18 Depth=2
	s_inst_prefetch 0x2
	s_or_b32 exec_lo, exec_lo, s14
	v_add_co_u32 v8, s5, v8, s20
	v_add_co_ci_u32_e64 v9, null, 0, v9, s5
	v_add_co_u32 v6, s6, v6, s7
	v_add_co_ci_u32_e64 v7, null, 0, v7, s6
	v_cmp_lt_u64_e64 s5, 2, v[8:9]
	v_add_nc_u32_e32 v34, s7, v34
	s_or_b32 s13, s5, s13
	s_andn2_b32 exec_lo, exec_lo, s13
	s_cbranch_execz .LBB4_24
.LBB4_18:                               ;   Parent Loop BB4_15 Depth=1
                                        ; =>  This Loop Header: Depth=2
                                        ;       Child Loop BB4_21 Depth 3
                                        ;         Child Loop BB4_23 Depth 4
	s_and_saveexec_b32 s14, s1
	s_cbranch_execz .LBB4_17
; %bb.19:                               ;   in Loop: Header=BB4_18 Depth=2
	v_mov_b32_e32 v11, v7
	v_mov_b32_e32 v13, v5
	;; [unrolled: 1-line block ×5, first 2 shown]
	s_mov_b32 s15, 0
	s_inst_prefetch 0x1
	s_branch .LBB4_21
	.p2align	6
.LBB4_20:                               ;   in Loop: Header=BB4_21 Depth=3
	s_or_b32 exec_lo, exec_lo, s16
	v_add_co_u32 v12, s5, v12, v14
	v_add_co_ci_u32_e64 v13, null, v13, v15, s5
	v_add_co_u32 v10, s6, v10, v22
	v_add_co_ci_u32_e64 v11, null, v11, v46, s6
	v_cmp_lt_u64_e64 s5, 2, v[12:13]
	v_add_nc_u32_e32 v35, v35, v22
	s_or_b32 s15, s5, s15
	s_andn2_b32 exec_lo, exec_lo, s15
	s_cbranch_execz .LBB4_17
.LBB4_21:                               ;   Parent Loop BB4_15 Depth=1
                                        ;     Parent Loop BB4_18 Depth=2
                                        ; =>    This Loop Header: Depth=3
                                        ;         Child Loop BB4_23 Depth 4
	s_and_saveexec_b32 s16, s2
	s_cbranch_execz .LBB4_20
; %bb.22:                               ;   in Loop: Header=BB4_21 Depth=3
	v_mov_b32_e32 v31, v11
	v_mov_b32_e32 v33, v1
	;; [unrolled: 1-line block ×5, first 2 shown]
	s_mov_b32 s17, 0
	.p2align	6
.LBB4_23:                               ;   Parent Loop BB4_15 Depth=1
                                        ;     Parent Loop BB4_18 Depth=2
                                        ;       Parent Loop BB4_21 Depth=3
                                        ; =>      This Inner Loop Header: Depth=4
	global_load_dwordx2 v[37:38], v[30:31], off
	v_add_co_u32 v32, s5, v32, v16
	v_add_co_ci_u32_e64 v33, null, v33, v17, s5
	v_add_co_u32 v30, s5, v30, v18
	v_add_co_ci_u32_e64 v31, null, v31, v19, s5
	v_cmp_lt_u64_e64 s6, 2, v[32:33]
	s_or_b32 s17, s6, s17
	s_waitcnt vmcnt(0)
	ds_write_b64 v36, v[37:38]
	v_add_nc_u32_e32 v36, v36, v43
	s_andn2_b32 exec_lo, exec_lo, s17
	s_cbranch_execnz .LBB4_23
	s_branch .LBB4_20
.LBB4_24:                               ;   in Loop: Header=BB4_15 Depth=1
	s_or_b32 exec_lo, exec_lo, s12
	s_waitcnt lgkmcnt(0)
	s_barrier
	buffer_gl0_inv
	s_and_saveexec_b32 s6, vcc_lo
	s_cbranch_execz .LBB4_33
; %bb.25:                               ;   in Loop: Header=BB4_15 Depth=1
	v_mov_b32_e32 v11, v3
	v_mov_b32_e32 v13, v44
	;; [unrolled: 1-line block ×3, first 2 shown]
	s_mov_b32 s12, 0
	s_branch .LBB4_27
.LBB4_26:                               ;   in Loop: Header=BB4_27 Depth=2
	s_or_b32 exec_lo, exec_lo, s13
	v_add_co_u32 v10, s5, v10, s20
	v_add_co_ci_u32_e64 v11, null, 0, v11, s5
	v_add_nc_u32_e32 v13, s10, v13
	v_cmp_lt_u64_e64 s5, 2, v[10:11]
	s_or_b32 s12, s5, s12
	s_andn2_b32 exec_lo, exec_lo, s12
	s_cbranch_execz .LBB4_33
.LBB4_27:                               ;   Parent Loop BB4_15 Depth=1
                                        ; =>  This Loop Header: Depth=2
                                        ;       Child Loop BB4_30 Depth 3
                                        ;         Child Loop BB4_32 Depth 4
	s_and_saveexec_b32 s13, s1
	s_cbranch_execz .LBB4_26
; %bb.28:                               ;   in Loop: Header=BB4_27 Depth=2
	v_mul_lo_u32 v12, 0x48, v10
	v_mov_b32_e32 v31, v5
	v_mov_b32_e32 v36, v13
	;; [unrolled: 1-line block ×3, first 2 shown]
	s_mov_b32 s14, 0
	s_branch .LBB4_30
.LBB4_29:                               ;   in Loop: Header=BB4_30 Depth=3
	s_or_b32 exec_lo, exec_lo, s15
	v_add_co_u32 v30, s5, v30, v14
	v_add_co_ci_u32_e64 v31, null, v31, v15, s5
	v_add_nc_u32_e32 v36, v36, v47
	v_cmp_lt_u64_e64 s5, 2, v[30:31]
	s_or_b32 s14, s5, s14
	s_andn2_b32 exec_lo, exec_lo, s14
	s_cbranch_execz .LBB4_26
.LBB4_30:                               ;   Parent Loop BB4_15 Depth=1
                                        ;     Parent Loop BB4_27 Depth=2
                                        ; =>    This Loop Header: Depth=3
                                        ;         Child Loop BB4_32 Depth 4
	s_and_saveexec_b32 s15, s3
	s_cbranch_execz .LBB4_29
; %bb.31:                               ;   in Loop: Header=BB4_30 Depth=3
	v_mad_u64_u32 v[32:33], null, v30, 24, v[12:13]
	v_mov_b32_e32 v35, v1
	v_mov_b32_e32 v37, v25
	;; [unrolled: 1-line block ×4, first 2 shown]
	s_mov_b32 s16, 0
	ds_read2_b64 v[6:9], v32 offset1:1
	ds_read_b64 v[32:33], v32 offset:16
	.p2align	6
.LBB4_32:                               ;   Parent Loop BB4_15 Depth=1
                                        ;     Parent Loop BB4_27 Depth=2
                                        ;       Parent Loop BB4_30 Depth=3
                                        ; =>      This Inner Loop Header: Depth=4
	ds_read2_b64 v[52:55], v37 offset1:1
	ds_read_b64 v[39:40], v37 offset:16
	v_add_co_u32 v34, s5, v34, v16
	v_add_co_ci_u32_e64 v35, null, v35, v17, s5
	v_mul_lo_u32 v41, v16, 24
	v_cmp_lt_u64_e64 s5, 3, v[34:35]
	v_add_nc_u32_e32 v37, v37, v41
	s_or_b32 s16, s5, s16
	s_waitcnt lgkmcnt(1)
	v_fma_f64 v[52:53], v[6:7], v[52:53], 0
	v_fma_f64 v[52:53], v[8:9], v[54:55], v[52:53]
	s_waitcnt lgkmcnt(0)
	v_fma_f64 v[39:40], v[32:33], v[39:40], v[52:53]
	ds_write_b64 v38, v[39:40]
	v_add_nc_u32_e32 v38, v38, v43
	s_andn2_b32 exec_lo, exec_lo, s16
	s_cbranch_execnz .LBB4_32
	s_branch .LBB4_29
.LBB4_33:                               ;   in Loop: Header=BB4_15 Depth=1
	s_or_b32 exec_lo, exec_lo, s6
	s_waitcnt lgkmcnt(0)
	s_barrier
	buffer_gl0_inv
	s_and_saveexec_b32 s6, vcc_lo
	s_cbranch_execz .LBB4_42
; %bb.34:                               ;   in Loop: Header=BB4_15 Depth=1
	v_mov_b32_e32 v11, v3
	v_add_nc_u32_e32 v35, 0x200, v42
	v_mov_b32_e32 v34, v49
	v_mov_b32_e32 v10, v2
	s_mov_b32 s12, 0
	s_branch .LBB4_36
.LBB4_35:                               ;   in Loop: Header=BB4_36 Depth=2
	s_inst_prefetch 0x2
	s_or_b32 exec_lo, exec_lo, s13
	v_add_co_u32 v10, s5, v10, s20
	v_add_co_ci_u32_e64 v11, null, 0, v11, s5
	v_add_nc_u32_e32 v34, s11, v34
	v_add_nc_u32_e32 v35, s10, v35
	v_cmp_lt_u64_e64 s5, 2, v[10:11]
	s_or_b32 s12, s5, s12
	s_andn2_b32 exec_lo, exec_lo, s12
	s_cbranch_execz .LBB4_42
.LBB4_36:                               ;   Parent Loop BB4_15 Depth=1
                                        ; =>  This Loop Header: Depth=2
                                        ;       Child Loop BB4_39 Depth 3
                                        ;         Child Loop BB4_41 Depth 4
	s_and_saveexec_b32 s13, s4
	s_cbranch_execz .LBB4_35
; %bb.37:                               ;   in Loop: Header=BB4_36 Depth=2
	v_mov_b32_e32 v13, v5
	v_mov_b32_e32 v36, v34
	;; [unrolled: 1-line block ×3, first 2 shown]
	s_mov_b32 s14, 0
	s_inst_prefetch 0x1
	s_branch .LBB4_39
	.p2align	6
.LBB4_38:                               ;   in Loop: Header=BB4_39 Depth=3
	s_or_b32 exec_lo, exec_lo, s15
	v_add_co_u32 v12, s5, v12, v14
	v_add_co_ci_u32_e64 v13, null, v13, v15, s5
	v_add_nc_u32_e32 v36, v36, v47
	v_cmp_lt_u64_e64 s5, 3, v[12:13]
	s_or_b32 s14, s5, s14
	s_andn2_b32 exec_lo, exec_lo, s14
	s_cbranch_execz .LBB4_35
.LBB4_39:                               ;   Parent Loop BB4_15 Depth=1
                                        ;     Parent Loop BB4_36 Depth=2
                                        ; =>    This Loop Header: Depth=3
                                        ;         Child Loop BB4_41 Depth 4
	s_and_saveexec_b32 s15, s3
	s_cbranch_execz .LBB4_38
; %bb.40:                               ;   in Loop: Header=BB4_39 Depth=3
	v_mul_lo_u32 v30, v12, 24
	v_mov_b32_e32 v33, v1
	v_mov_b32_e32 v37, 0
	;; [unrolled: 1-line block ×3, first 2 shown]
	s_mov_b32 s16, 0
	ds_read2_b64 v[6:9], v30 offset0:128 offset1:129
	ds_read_b64 v[30:31], v30 offset:1040
	.p2align	6
.LBB4_41:                               ;   Parent Loop BB4_15 Depth=1
                                        ;     Parent Loop BB4_36 Depth=2
                                        ;       Parent Loop BB4_39 Depth=3
                                        ; =>      This Inner Loop Header: Depth=4
	v_add_nc_u32_e32 v52, v35, v37
	v_add_co_u32 v32, s5, v32, v16
	v_add_co_ci_u32_e64 v33, null, v33, v17, s5
	ds_read2_b64 v[38:41], v52 offset1:4
	v_cmp_lt_u64_e64 s5, 3, v[32:33]
	s_or_b32 s16, s5, s16
	s_waitcnt lgkmcnt(0)
	v_fma_f64 v[38:39], v[6:7], v[38:39], 0
	v_fma_f64 v[38:39], v[8:9], v[40:41], v[38:39]
	ds_read_b64 v[40:41], v52 offset:64
	s_waitcnt lgkmcnt(0)
	v_fma_f64 v[38:39], v[30:31], v[40:41], v[38:39]
	v_add_nc_u32_e32 v40, v36, v37
	v_add_nc_u32_e32 v37, v37, v43
	ds_write_b64 v40, v[38:39]
	s_andn2_b32 exec_lo, exec_lo, s16
	s_cbranch_execnz .LBB4_41
	s_branch .LBB4_38
.LBB4_42:                               ;   in Loop: Header=BB4_15 Depth=1
	s_or_b32 exec_lo, exec_lo, s6
	s_waitcnt lgkmcnt(0)
	s_barrier
	buffer_gl0_inv
	s_and_saveexec_b32 s12, s0
	s_cbranch_execz .LBB4_51
; %bb.43:                               ;   in Loop: Header=BB4_15 Depth=1
	v_mov_b32_e32 v10, v26
	v_mov_b32_e32 v13, v3
	v_add_nc_u32_e32 v41, 0x200, v49
	v_mov_b32_e32 v11, v27
	v_mov_b32_e32 v12, v2
	s_mov_b32 s13, 0
	s_branch .LBB4_45
.LBB4_44:                               ;   in Loop: Header=BB4_45 Depth=2
	s_or_b32 exec_lo, exec_lo, s14
	v_add_co_u32 v12, s5, v12, s20
	v_add_co_ci_u32_e64 v13, null, 0, v13, s5
	v_add_co_u32 v10, s6, v10, s11
	v_add_co_ci_u32_e64 v11, null, 0, v11, s6
	v_cmp_lt_u64_e64 s5, 3, v[12:13]
	v_add_nc_u32_e32 v41, s11, v41
	s_or_b32 s13, s5, s13
	s_andn2_b32 exec_lo, exec_lo, s13
	s_cbranch_execz .LBB4_51
.LBB4_45:                               ;   Parent Loop BB4_15 Depth=1
                                        ; =>  This Loop Header: Depth=2
                                        ;       Child Loop BB4_48 Depth 3
                                        ;         Child Loop BB4_50 Depth 4
	s_and_saveexec_b32 s14, s4
	s_cbranch_execz .LBB4_44
; %bb.46:                               ;   in Loop: Header=BB4_45 Depth=2
	v_mad_u64_u32 v[30:31], null, v12, 24, 0x400
	v_mov_b32_e32 v32, v11
	v_mov_b32_e32 v34, v5
	v_mov_b32_e32 v52, v48
	v_mov_b32_e32 v53, v41
	v_mov_b32_e32 v31, v10
	v_mov_b32_e32 v33, v4
	s_mov_b32 s15, 0
	s_branch .LBB4_48
.LBB4_47:                               ;   in Loop: Header=BB4_48 Depth=3
	s_inst_prefetch 0x2
	s_or_b32 exec_lo, exec_lo, s16
	v_add_co_u32 v33, s5, v33, v14
	v_add_co_ci_u32_e64 v34, null, v34, v15, s5
	v_add_co_u32 v31, s6, v31, v20
	v_add_co_ci_u32_e64 v32, null, v32, v21, s6
	v_cmp_lt_u64_e64 s5, 3, v[33:34]
	v_add_nc_u32_e32 v53, v53, v47
	v_add_nc_u32_e32 v52, v52, v47
	s_or_b32 s15, s5, s15
	s_andn2_b32 exec_lo, exec_lo, s15
	s_cbranch_execz .LBB4_44
.LBB4_48:                               ;   Parent Loop BB4_15 Depth=1
                                        ;     Parent Loop BB4_45 Depth=2
                                        ; =>    This Loop Header: Depth=3
                                        ;         Child Loop BB4_50 Depth 4
	s_and_saveexec_b32 s16, s3
	s_cbranch_execz .LBB4_47
; %bb.49:                               ;   in Loop: Header=BB4_48 Depth=3
	ds_read2_b64 v[6:9], v30 offset1:1
	ds_read_b64 v[35:36], v30 offset:16
	v_mov_b32_e32 v38, v32
	v_mov_b32_e32 v40, v1
	;; [unrolled: 1-line block ×5, first 2 shown]
	s_mov_b32 s17, 0
	s_inst_prefetch 0x1
	.p2align	6
.LBB4_50:                               ;   Parent Loop BB4_15 Depth=1
                                        ;     Parent Loop BB4_45 Depth=2
                                        ;       Parent Loop BB4_48 Depth=3
                                        ; =>      This Inner Loop Header: Depth=4
	global_load_dwordx2 v[59:60], v[37:38], off
	v_add_nc_u32_e32 v61, v52, v54
	v_add_co_u32 v39, s5, v39, v16
	v_add_co_ci_u32_e64 v40, null, v40, v17, s5
	ds_read2_b64 v[55:58], v61 offset1:16
	v_add_co_u32 v37, s6, v37, v18
	v_cmp_lt_u64_e64 s5, 3, v[39:40]
	v_add_co_ci_u32_e64 v38, null, v38, v19, s6
	s_or_b32 s17, s5, s17
	s_waitcnt lgkmcnt(0)
	v_fma_f64 v[55:56], v[6:7], v[55:56], 0
	v_fma_f64 v[55:56], v[8:9], v[57:58], v[55:56]
	ds_read_b64 v[57:58], v61 offset:256
	s_waitcnt lgkmcnt(0)
	v_fma_f64 v[55:56], v[35:36], v[57:58], v[55:56]
	v_add_nc_u32_e32 v57, v53, v54
	v_add_nc_u32_e32 v54, v54, v43
	s_waitcnt vmcnt(0)
	v_mul_f64 v[55:56], v[59:60], v[55:56]
	ds_write_b64 v57, v[55:56]
	s_andn2_b32 exec_lo, exec_lo, s17
	s_cbranch_execnz .LBB4_50
	s_branch .LBB4_47
.LBB4_51:                               ;   in Loop: Header=BB4_15 Depth=1
	s_or_b32 exec_lo, exec_lo, s12
	s_waitcnt lgkmcnt(0)
	s_barrier
	buffer_gl0_inv
	s_and_saveexec_b32 s6, s0
	s_cbranch_execz .LBB4_60
; %bb.52:                               ;   in Loop: Header=BB4_15 Depth=1
	v_mov_b32_e32 v31, v3
	v_mov_b32_e32 v36, v50
	;; [unrolled: 1-line block ×3, first 2 shown]
	s_mov_b32 s12, 0
	s_branch .LBB4_54
.LBB4_53:                               ;   in Loop: Header=BB4_54 Depth=2
	s_or_b32 exec_lo, exec_lo, s13
	v_add_co_u32 v30, s5, v30, s20
	v_add_co_ci_u32_e64 v31, null, 0, v31, s5
	v_add_nc_u32_e32 v36, s10, v36
	v_cmp_lt_u64_e64 s5, 3, v[30:31]
	s_or_b32 s12, s5, s12
	s_andn2_b32 exec_lo, exec_lo, s12
	s_cbranch_execz .LBB4_60
.LBB4_54:                               ;   Parent Loop BB4_15 Depth=1
                                        ; =>  This Loop Header: Depth=2
                                        ;       Child Loop BB4_57 Depth 3
                                        ;         Child Loop BB4_59 Depth 4
	s_and_saveexec_b32 s13, s4
	s_cbranch_execz .LBB4_53
; %bb.55:                               ;   in Loop: Header=BB4_54 Depth=2
	v_mov_b32_e32 v33, v5
	v_lshl_add_u32 v37, v30, 7, 0x200
	v_mov_b32_e32 v38, v36
	v_mov_b32_e32 v32, v4
	s_mov_b32 s14, 0
	s_branch .LBB4_57
.LBB4_56:                               ;   in Loop: Header=BB4_57 Depth=3
	s_or_b32 exec_lo, exec_lo, s15
	v_add_co_u32 v32, s5, v32, v14
	v_add_co_ci_u32_e64 v33, null, v33, v15, s5
	v_add_nc_u32_e32 v38, v38, v22
	v_cmp_lt_u64_e64 s5, 3, v[32:33]
	s_or_b32 s14, s5, s14
	s_andn2_b32 exec_lo, exec_lo, s14
	s_cbranch_execz .LBB4_53
.LBB4_57:                               ;   Parent Loop BB4_15 Depth=1
                                        ;     Parent Loop BB4_54 Depth=2
                                        ; =>    This Loop Header: Depth=3
                                        ;         Child Loop BB4_59 Depth 4
	s_and_saveexec_b32 s15, s2
	s_cbranch_execz .LBB4_56
; %bb.58:                               ;   in Loop: Header=BB4_57 Depth=3
	v_lshl_add_u32 v10, v32, 5, v37
	v_mov_b32_e32 v35, v1
	v_lshl_add_u32 v39, v0, 5, 0x460
	v_mov_b32_e32 v40, v38
	v_mov_b32_e32 v34, v0
	ds_read_b128 v[6:9], v10
	ds_read_b128 v[10:13], v10 offset:16
	s_mov_b32 s16, 0
	.p2align	6
.LBB4_59:                               ;   Parent Loop BB4_15 Depth=1
                                        ;     Parent Loop BB4_54 Depth=2
                                        ;       Parent Loop BB4_57 Depth=3
                                        ; =>      This Inner Loop Header: Depth=4
	ds_read_b128 v[52:55], v39
	ds_read_b128 v[56:59], v39 offset:16
	v_add_co_u32 v34, s5, v34, v16
	v_add_co_ci_u32_e64 v35, null, v35, v17, s5
	v_lshlrev_b32_e32 v41, 5, v16
	v_cmp_lt_u64_e64 s5, 2, v[34:35]
	v_add_nc_u32_e32 v39, v39, v41
	s_or_b32 s16, s5, s16
	s_waitcnt lgkmcnt(1)
	v_fma_f64 v[52:53], v[6:7], v[52:53], 0
	v_fma_f64 v[52:53], v[8:9], v[54:55], v[52:53]
	s_waitcnt lgkmcnt(0)
	v_fma_f64 v[52:53], v[10:11], v[56:57], v[52:53]
	v_fma_f64 v[52:53], v[12:13], v[58:59], v[52:53]
	ds_write_b64 v40, v[52:53]
	v_add_nc_u32_e32 v40, v40, v43
	s_andn2_b32 exec_lo, exec_lo, s16
	s_cbranch_execnz .LBB4_59
	s_branch .LBB4_56
.LBB4_60:                               ;   in Loop: Header=BB4_15 Depth=1
	s_or_b32 exec_lo, exec_lo, s6
	s_waitcnt lgkmcnt(0)
	s_barrier
	buffer_gl0_inv
	s_and_saveexec_b32 s6, s0
	s_cbranch_execz .LBB4_69
; %bb.61:                               ;   in Loop: Header=BB4_15 Depth=1
	v_mov_b32_e32 v31, v3
	v_add_nc_u32_e32 v37, 0x200, v45
	v_mov_b32_e32 v36, v42
	v_mov_b32_e32 v30, v2
	s_mov_b32 s12, 0
	s_branch .LBB4_63
.LBB4_62:                               ;   in Loop: Header=BB4_63 Depth=2
	s_or_b32 exec_lo, exec_lo, s13
	v_add_co_u32 v30, s5, v30, s20
	v_add_co_ci_u32_e64 v31, null, 0, v31, s5
	v_add_nc_u32_e32 v37, s7, v37
	v_add_nc_u32_e32 v36, s10, v36
	v_cmp_lt_u64_e64 s5, 3, v[30:31]
	s_or_b32 s12, s5, s12
	s_andn2_b32 exec_lo, exec_lo, s12
	s_cbranch_execz .LBB4_69
.LBB4_63:                               ;   Parent Loop BB4_15 Depth=1
                                        ; =>  This Loop Header: Depth=2
                                        ;       Child Loop BB4_66 Depth 3
                                        ;         Child Loop BB4_68 Depth 4
	s_and_saveexec_b32 s13, s1
	s_cbranch_execz .LBB4_62
; %bb.64:                               ;   in Loop: Header=BB4_63 Depth=2
	v_mov_b32_e32 v33, v5
	v_mov_b32_e32 v38, v37
	v_mov_b32_e32 v32, v4
	s_mov_b32 s14, 0
	s_branch .LBB4_66
.LBB4_65:                               ;   in Loop: Header=BB4_66 Depth=3
	s_or_b32 exec_lo, exec_lo, s15
	v_add_co_u32 v32, s5, v32, v14
	v_add_co_ci_u32_e64 v33, null, v33, v15, s5
	v_add_nc_u32_e32 v38, v38, v22
	v_cmp_lt_u64_e64 s5, 2, v[32:33]
	s_or_b32 s14, s5, s14
	s_andn2_b32 exec_lo, exec_lo, s14
	s_cbranch_execz .LBB4_62
.LBB4_66:                               ;   Parent Loop BB4_15 Depth=1
                                        ;     Parent Loop BB4_63 Depth=2
                                        ; =>    This Loop Header: Depth=3
                                        ;         Child Loop BB4_68 Depth 4
	s_and_saveexec_b32 s15, s2
	s_cbranch_execz .LBB4_65
; %bb.67:                               ;   in Loop: Header=BB4_66 Depth=3
	v_lshlrev_b32_e32 v10, 5, v32
	v_mov_b32_e32 v35, v1
	v_mov_b32_e32 v39, 0
	;; [unrolled: 1-line block ×3, first 2 shown]
	s_mov_b32 s16, 0
	ds_read_b128 v[6:9], v10 offset:1120
	ds_read_b128 v[10:13], v10 offset:1136
	.p2align	6
.LBB4_68:                               ;   Parent Loop BB4_15 Depth=1
                                        ;     Parent Loop BB4_63 Depth=2
                                        ;       Parent Loop BB4_66 Depth=3
                                        ; =>      This Inner Loop Header: Depth=4
	v_add_nc_u32_e32 v56, v36, v39
	v_add_co_u32 v34, s5, v34, v16
	v_add_co_ci_u32_e64 v35, null, v35, v17, s5
	ds_read2_b64 v[52:55], v56 offset1:3
	v_cmp_lt_u64_e64 s5, 2, v[34:35]
	s_or_b32 s16, s5, s16
	s_waitcnt lgkmcnt(0)
	v_fma_f64 v[40:41], v[6:7], v[52:53], 0
	v_fma_f64 v[40:41], v[8:9], v[54:55], v[40:41]
	ds_read2_b64 v[52:55], v56 offset0:6 offset1:9
	s_waitcnt lgkmcnt(0)
	v_fma_f64 v[40:41], v[10:11], v[52:53], v[40:41]
	v_add_nc_u32_e32 v52, v38, v39
	v_add_nc_u32_e32 v39, v39, v43
	v_fma_f64 v[40:41], v[12:13], v[54:55], v[40:41]
	ds_write_b64 v52, v[40:41]
	s_andn2_b32 exec_lo, exec_lo, s16
	s_cbranch_execnz .LBB4_68
	s_branch .LBB4_65
.LBB4_69:                               ;   in Loop: Header=BB4_15 Depth=1
	s_or_b32 exec_lo, exec_lo, s6
	s_waitcnt lgkmcnt(0)
	s_barrier
	buffer_gl0_inv
	s_and_saveexec_b32 s12, vcc_lo
	s_cbranch_execz .LBB4_14
; %bb.70:                               ;   in Loop: Header=BB4_15 Depth=1
	v_mov_b32_e32 v31, v29
	v_mov_b32_e32 v33, v3
	;; [unrolled: 1-line block ×4, first 2 shown]
	s_mov_b32 s13, 0
	s_branch .LBB4_72
.LBB4_71:                               ;   in Loop: Header=BB4_72 Depth=2
	s_or_b32 exec_lo, exec_lo, s14
	v_add_co_u32 v32, s5, v32, s20
	v_add_co_ci_u32_e64 v33, null, 0, v33, s5
	v_add_co_u32 v30, s6, v30, s7
	v_add_co_ci_u32_e64 v31, null, 0, v31, s6
	v_cmp_lt_u64_e64 s5, 2, v[32:33]
	s_or_b32 s13, s5, s13
	s_andn2_b32 exec_lo, exec_lo, s13
	s_cbranch_execz .LBB4_14
.LBB4_72:                               ;   Parent Loop BB4_15 Depth=1
                                        ; =>  This Loop Header: Depth=2
                                        ;       Child Loop BB4_75 Depth 3
                                        ;         Child Loop BB4_77 Depth 4
	s_and_saveexec_b32 s14, s1
	s_cbranch_execz .LBB4_71
; %bb.73:                               ;   in Loop: Header=BB4_72 Depth=2
	v_mov_b32_e32 v35, v31
	v_mov_b32_e32 v37, v5
	v_lshl_add_u32 v52, v32, 5, 0x460
	v_mov_b32_e32 v53, v51
	v_mov_b32_e32 v34, v30
	;; [unrolled: 1-line block ×3, first 2 shown]
	s_mov_b32 s15, 0
	s_branch .LBB4_75
.LBB4_74:                               ;   in Loop: Header=BB4_75 Depth=3
	s_or_b32 exec_lo, exec_lo, s16
	v_add_co_u32 v36, s5, v36, v14
	v_add_co_ci_u32_e64 v37, null, v37, v15, s5
	v_add_co_u32 v34, s6, v34, v22
	v_add_co_ci_u32_e64 v35, null, v35, v46, s6
	v_cmp_lt_u64_e64 s5, 2, v[36:37]
	v_add_nc_u32_e32 v53, v53, v22
	s_or_b32 s15, s5, s15
	s_andn2_b32 exec_lo, exec_lo, s15
	s_cbranch_execz .LBB4_71
.LBB4_75:                               ;   Parent Loop BB4_15 Depth=1
                                        ;     Parent Loop BB4_72 Depth=2
                                        ; =>    This Loop Header: Depth=3
                                        ;         Child Loop BB4_77 Depth 4
	s_and_saveexec_b32 s16, s2
	s_cbranch_execz .LBB4_74
; %bb.76:                               ;   in Loop: Header=BB4_75 Depth=3
	ds_read_b128 v[6:9], v52
	ds_read_b128 v[10:13], v52 offset:16
	v_mov_b32_e32 v39, v35
	v_mov_b32_e32 v41, v1
	;; [unrolled: 1-line block ×5, first 2 shown]
	s_mov_b32 s17, 0
	.p2align	6
.LBB4_77:                               ;   Parent Loop BB4_15 Depth=1
                                        ;     Parent Loop BB4_72 Depth=2
                                        ;       Parent Loop BB4_75 Depth=3
                                        ; =>      This Inner Loop Header: Depth=4
	ds_read2_b64 v[55:58], v54 offset1:9
	v_add_co_u32 v40, s5, v40, v16
	v_add_co_ci_u32_e64 v41, null, v41, v17, s5
	v_cmp_lt_u64_e64 s5, 2, v[40:41]
	s_or_b32 s17, s5, s17
	s_waitcnt lgkmcnt(0)
	v_fma_f64 v[55:56], v[55:56], v[6:7], 0
	v_fma_f64 v[59:60], v[57:58], v[8:9], v[55:56]
	ds_read2_b64 v[55:58], v54 offset0:18 offset1:27
	v_add_nc_u32_e32 v54, v54, v43
	s_waitcnt lgkmcnt(0)
	v_fma_f64 v[55:56], v[55:56], v[10:11], v[59:60]
	v_fma_f64 v[55:56], v[57:58], v[12:13], v[55:56]
	global_store_dwordx2 v[38:39], v[55:56], off
	v_add_co_u32 v38, s6, v38, v18
	v_add_co_ci_u32_e64 v39, null, v39, v19, s6
	s_andn2_b32 exec_lo, exec_lo, s17
	s_cbranch_execnz .LBB4_77
	s_branch .LBB4_74
.LBB4_78:
	s_endpgm
	.section	.rodata,"a",@progbits
	.p2align	6, 0x0
	.amdhsa_kernel _ZN4RAJA34launch_new_reduce_global_fcn_fixedIZN8rajaperf4apps11MASSVEC3DPA17runHipVariantImplILm64ELm2EEEvNS1_9VariantIDEEUlNS_14LaunchContextTINS_3hip33LaunchContextIndicesAndDimsPolicyINS7_14IndicesAndDimsILb0ELb0ELb1ELb0EEEEEEEE_Li64ENS_4expt15ForallParamPackIJEEEEEvT_T1_
		.amdhsa_group_segment_fixed_size 1216
		.amdhsa_private_segment_fixed_size 0
		.amdhsa_kernarg_size 304
		.amdhsa_user_sgpr_count 6
		.amdhsa_user_sgpr_private_segment_buffer 1
		.amdhsa_user_sgpr_dispatch_ptr 0
		.amdhsa_user_sgpr_queue_ptr 0
		.amdhsa_user_sgpr_kernarg_segment_ptr 1
		.amdhsa_user_sgpr_dispatch_id 0
		.amdhsa_user_sgpr_flat_scratch_init 0
		.amdhsa_user_sgpr_private_segment_size 0
		.amdhsa_wavefront_size32 1
		.amdhsa_uses_dynamic_stack 0
		.amdhsa_system_sgpr_private_segment_wavefront_offset 0
		.amdhsa_system_sgpr_workgroup_id_x 1
		.amdhsa_system_sgpr_workgroup_id_y 0
		.amdhsa_system_sgpr_workgroup_id_z 0
		.amdhsa_system_sgpr_workgroup_info 0
		.amdhsa_system_vgpr_workitem_id 2
		.amdhsa_next_free_vgpr 62
		.amdhsa_next_free_sgpr 27
		.amdhsa_reserve_vcc 1
		.amdhsa_reserve_flat_scratch 0
		.amdhsa_float_round_mode_32 0
		.amdhsa_float_round_mode_16_64 0
		.amdhsa_float_denorm_mode_32 3
		.amdhsa_float_denorm_mode_16_64 3
		.amdhsa_dx10_clamp 1
		.amdhsa_ieee_mode 1
		.amdhsa_fp16_overflow 0
		.amdhsa_workgroup_processor_mode 1
		.amdhsa_memory_ordered 1
		.amdhsa_forward_progress 1
		.amdhsa_shared_vgpr_count 0
		.amdhsa_exception_fp_ieee_invalid_op 0
		.amdhsa_exception_fp_denorm_src 0
		.amdhsa_exception_fp_ieee_div_zero 0
		.amdhsa_exception_fp_ieee_overflow 0
		.amdhsa_exception_fp_ieee_underflow 0
		.amdhsa_exception_fp_ieee_inexact 0
		.amdhsa_exception_int_div_zero 0
	.end_amdhsa_kernel
	.section	.text._ZN4RAJA34launch_new_reduce_global_fcn_fixedIZN8rajaperf4apps11MASSVEC3DPA17runHipVariantImplILm64ELm2EEEvNS1_9VariantIDEEUlNS_14LaunchContextTINS_3hip33LaunchContextIndicesAndDimsPolicyINS7_14IndicesAndDimsILb0ELb0ELb1ELb0EEEEEEEE_Li64ENS_4expt15ForallParamPackIJEEEEEvT_T1_,"axG",@progbits,_ZN4RAJA34launch_new_reduce_global_fcn_fixedIZN8rajaperf4apps11MASSVEC3DPA17runHipVariantImplILm64ELm2EEEvNS1_9VariantIDEEUlNS_14LaunchContextTINS_3hip33LaunchContextIndicesAndDimsPolicyINS7_14IndicesAndDimsILb0ELb0ELb1ELb0EEEEEEEE_Li64ENS_4expt15ForallParamPackIJEEEEEvT_T1_,comdat
.Lfunc_end4:
	.size	_ZN4RAJA34launch_new_reduce_global_fcn_fixedIZN8rajaperf4apps11MASSVEC3DPA17runHipVariantImplILm64ELm2EEEvNS1_9VariantIDEEUlNS_14LaunchContextTINS_3hip33LaunchContextIndicesAndDimsPolicyINS7_14IndicesAndDimsILb0ELb0ELb1ELb0EEEEEEEE_Li64ENS_4expt15ForallParamPackIJEEEEEvT_T1_, .Lfunc_end4-_ZN4RAJA34launch_new_reduce_global_fcn_fixedIZN8rajaperf4apps11MASSVEC3DPA17runHipVariantImplILm64ELm2EEEvNS1_9VariantIDEEUlNS_14LaunchContextTINS_3hip33LaunchContextIndicesAndDimsPolicyINS7_14IndicesAndDimsILb0ELb0ELb1ELb0EEEEEEEE_Li64ENS_4expt15ForallParamPackIJEEEEEvT_T1_
                                        ; -- End function
	.set _ZN4RAJA34launch_new_reduce_global_fcn_fixedIZN8rajaperf4apps11MASSVEC3DPA17runHipVariantImplILm64ELm2EEEvNS1_9VariantIDEEUlNS_14LaunchContextTINS_3hip33LaunchContextIndicesAndDimsPolicyINS7_14IndicesAndDimsILb0ELb0ELb1ELb0EEEEEEEE_Li64ENS_4expt15ForallParamPackIJEEEEEvT_T1_.num_vgpr, 62
	.set _ZN4RAJA34launch_new_reduce_global_fcn_fixedIZN8rajaperf4apps11MASSVEC3DPA17runHipVariantImplILm64ELm2EEEvNS1_9VariantIDEEUlNS_14LaunchContextTINS_3hip33LaunchContextIndicesAndDimsPolicyINS7_14IndicesAndDimsILb0ELb0ELb1ELb0EEEEEEEE_Li64ENS_4expt15ForallParamPackIJEEEEEvT_T1_.num_agpr, 0
	.set _ZN4RAJA34launch_new_reduce_global_fcn_fixedIZN8rajaperf4apps11MASSVEC3DPA17runHipVariantImplILm64ELm2EEEvNS1_9VariantIDEEUlNS_14LaunchContextTINS_3hip33LaunchContextIndicesAndDimsPolicyINS7_14IndicesAndDimsILb0ELb0ELb1ELb0EEEEEEEE_Li64ENS_4expt15ForallParamPackIJEEEEEvT_T1_.numbered_sgpr, 27
	.set _ZN4RAJA34launch_new_reduce_global_fcn_fixedIZN8rajaperf4apps11MASSVEC3DPA17runHipVariantImplILm64ELm2EEEvNS1_9VariantIDEEUlNS_14LaunchContextTINS_3hip33LaunchContextIndicesAndDimsPolicyINS7_14IndicesAndDimsILb0ELb0ELb1ELb0EEEEEEEE_Li64ENS_4expt15ForallParamPackIJEEEEEvT_T1_.num_named_barrier, 0
	.set _ZN4RAJA34launch_new_reduce_global_fcn_fixedIZN8rajaperf4apps11MASSVEC3DPA17runHipVariantImplILm64ELm2EEEvNS1_9VariantIDEEUlNS_14LaunchContextTINS_3hip33LaunchContextIndicesAndDimsPolicyINS7_14IndicesAndDimsILb0ELb0ELb1ELb0EEEEEEEE_Li64ENS_4expt15ForallParamPackIJEEEEEvT_T1_.private_seg_size, 0
	.set _ZN4RAJA34launch_new_reduce_global_fcn_fixedIZN8rajaperf4apps11MASSVEC3DPA17runHipVariantImplILm64ELm2EEEvNS1_9VariantIDEEUlNS_14LaunchContextTINS_3hip33LaunchContextIndicesAndDimsPolicyINS7_14IndicesAndDimsILb0ELb0ELb1ELb0EEEEEEEE_Li64ENS_4expt15ForallParamPackIJEEEEEvT_T1_.uses_vcc, 1
	.set _ZN4RAJA34launch_new_reduce_global_fcn_fixedIZN8rajaperf4apps11MASSVEC3DPA17runHipVariantImplILm64ELm2EEEvNS1_9VariantIDEEUlNS_14LaunchContextTINS_3hip33LaunchContextIndicesAndDimsPolicyINS7_14IndicesAndDimsILb0ELb0ELb1ELb0EEEEEEEE_Li64ENS_4expt15ForallParamPackIJEEEEEvT_T1_.uses_flat_scratch, 0
	.set _ZN4RAJA34launch_new_reduce_global_fcn_fixedIZN8rajaperf4apps11MASSVEC3DPA17runHipVariantImplILm64ELm2EEEvNS1_9VariantIDEEUlNS_14LaunchContextTINS_3hip33LaunchContextIndicesAndDimsPolicyINS7_14IndicesAndDimsILb0ELb0ELb1ELb0EEEEEEEE_Li64ENS_4expt15ForallParamPackIJEEEEEvT_T1_.has_dyn_sized_stack, 0
	.set _ZN4RAJA34launch_new_reduce_global_fcn_fixedIZN8rajaperf4apps11MASSVEC3DPA17runHipVariantImplILm64ELm2EEEvNS1_9VariantIDEEUlNS_14LaunchContextTINS_3hip33LaunchContextIndicesAndDimsPolicyINS7_14IndicesAndDimsILb0ELb0ELb1ELb0EEEEEEEE_Li64ENS_4expt15ForallParamPackIJEEEEEvT_T1_.has_recursion, 0
	.set _ZN4RAJA34launch_new_reduce_global_fcn_fixedIZN8rajaperf4apps11MASSVEC3DPA17runHipVariantImplILm64ELm2EEEvNS1_9VariantIDEEUlNS_14LaunchContextTINS_3hip33LaunchContextIndicesAndDimsPolicyINS7_14IndicesAndDimsILb0ELb0ELb1ELb0EEEEEEEE_Li64ENS_4expt15ForallParamPackIJEEEEEvT_T1_.has_indirect_call, 0
	.section	.AMDGPU.csdata,"",@progbits
; Kernel info:
; codeLenInByte = 3840
; TotalNumSgprs: 29
; NumVgprs: 62
; ScratchSize: 0
; MemoryBound: 0
; FloatMode: 240
; IeeeMode: 1
; LDSByteSize: 1216 bytes/workgroup (compile time only)
; SGPRBlocks: 0
; VGPRBlocks: 7
; NumSGPRsForWavesPerEU: 29
; NumVGPRsForWavesPerEU: 62
; Occupancy: 16
; WaveLimiterHint : 0
; COMPUTE_PGM_RSRC2:SCRATCH_EN: 0
; COMPUTE_PGM_RSRC2:USER_SGPR: 6
; COMPUTE_PGM_RSRC2:TRAP_HANDLER: 0
; COMPUTE_PGM_RSRC2:TGID_X_EN: 1
; COMPUTE_PGM_RSRC2:TGID_Y_EN: 0
; COMPUTE_PGM_RSRC2:TGID_Z_EN: 0
; COMPUTE_PGM_RSRC2:TIDIG_COMP_CNT: 2
	.section	.AMDGPU.gpr_maximums,"",@progbits
	.set amdgpu.max_num_vgpr, 0
	.set amdgpu.max_num_agpr, 0
	.set amdgpu.max_num_sgpr, 0
	.section	.AMDGPU.csdata,"",@progbits
	.type	__hip_cuid_bddaddeedff95199,@object ; @__hip_cuid_bddaddeedff95199
	.section	.bss,"aw",@nobits
	.globl	__hip_cuid_bddaddeedff95199
__hip_cuid_bddaddeedff95199:
	.byte	0                               ; 0x0
	.size	__hip_cuid_bddaddeedff95199, 1

	.ident	"AMD clang version 22.0.0git (https://github.com/RadeonOpenCompute/llvm-project roc-7.2.4 26084 f58b06dce1f9c15707c5f808fd002e18c2accf7e)"
	.section	".note.GNU-stack","",@progbits
	.addrsig
	.addrsig_sym __hip_cuid_bddaddeedff95199
	.amdgpu_metadata
---
amdhsa.kernels:
  - .args:
      - .address_space:  global
        .offset:         0
        .size:           8
        .value_kind:     global_buffer
      - .address_space:  global
        .offset:         8
        .size:           8
        .value_kind:     global_buffer
      - .address_space:  global
        .offset:         16
        .size:           8
        .value_kind:     global_buffer
      - .address_space:  global
        .offset:         24
        .size:           8
        .value_kind:     global_buffer
      - .offset:         32
        .size:           4
        .value_kind:     hidden_block_count_x
      - .offset:         36
        .size:           4
        .value_kind:     hidden_block_count_y
      - .offset:         40
        .size:           4
        .value_kind:     hidden_block_count_z
      - .offset:         44
        .size:           2
        .value_kind:     hidden_group_size_x
      - .offset:         46
        .size:           2
        .value_kind:     hidden_group_size_y
      - .offset:         48
        .size:           2
        .value_kind:     hidden_group_size_z
      - .offset:         50
        .size:           2
        .value_kind:     hidden_remainder_x
      - .offset:         52
        .size:           2
        .value_kind:     hidden_remainder_y
      - .offset:         54
        .size:           2
        .value_kind:     hidden_remainder_z
      - .offset:         72
        .size:           8
        .value_kind:     hidden_global_offset_x
      - .offset:         80
        .size:           8
        .value_kind:     hidden_global_offset_y
      - .offset:         88
        .size:           8
        .value_kind:     hidden_global_offset_z
      - .offset:         96
        .size:           2
        .value_kind:     hidden_grid_dims
    .group_segment_fixed_size: 1216
    .kernarg_segment_align: 8
    .kernarg_segment_size: 288
    .language:       OpenCL C
    .language_version:
      - 2
      - 0
    .max_flat_workgroup_size: 64
    .name:           _ZN8rajaperf4apps15MassVec3DPALoopILm64EEEvPdS2_S2_S2_
    .private_segment_fixed_size: 0
    .sgpr_count:     23
    .sgpr_spill_count: 0
    .symbol:         _ZN8rajaperf4apps15MassVec3DPALoopILm64EEEvPdS2_S2_S2_.kd
    .uniform_work_group_size: 1
    .uses_dynamic_stack: false
    .vgpr_count:     62
    .vgpr_spill_count: 0
    .wavefront_size: 32
    .workgroup_processor_mode: 1
  - .args:
      - .offset:         0
        .size:           40
        .value_kind:     by_value
      - .offset:         40
        .size:           1
        .value_kind:     by_value
      - .offset:         48
        .size:           4
        .value_kind:     hidden_block_count_x
      - .offset:         52
        .size:           4
        .value_kind:     hidden_block_count_y
      - .offset:         56
        .size:           4
        .value_kind:     hidden_block_count_z
      - .offset:         60
        .size:           2
        .value_kind:     hidden_group_size_x
      - .offset:         62
        .size:           2
        .value_kind:     hidden_group_size_y
      - .offset:         64
        .size:           2
        .value_kind:     hidden_group_size_z
      - .offset:         66
        .size:           2
        .value_kind:     hidden_remainder_x
      - .offset:         68
        .size:           2
        .value_kind:     hidden_remainder_y
      - .offset:         70
        .size:           2
        .value_kind:     hidden_remainder_z
      - .offset:         88
        .size:           8
        .value_kind:     hidden_global_offset_x
      - .offset:         96
        .size:           8
        .value_kind:     hidden_global_offset_y
      - .offset:         104
        .size:           8
        .value_kind:     hidden_global_offset_z
      - .offset:         112
        .size:           2
        .value_kind:     hidden_grid_dims
    .group_segment_fixed_size: 1216
    .kernarg_segment_align: 8
    .kernarg_segment_size: 304
    .language:       OpenCL C
    .language_version:
      - 2
      - 0
    .max_flat_workgroup_size: 64
    .name:           _ZN4RAJA34launch_new_reduce_global_fcn_fixedIZN8rajaperf4apps11MASSVEC3DPA17runHipVariantImplILm64ELm0EEEvNS1_9VariantIDEEUlNS_14LaunchContextTINS_3hip33LaunchContextIndicesAndDimsPolicyINS7_14IndicesAndDimsILb0ELb0ELb0ELb0EEEEEEEE_Li64ENS_4expt15ForallParamPackIJEEEEEvT_T1_
    .private_segment_fixed_size: 0
    .sgpr_count:     27
    .sgpr_spill_count: 0
    .symbol:         _ZN4RAJA34launch_new_reduce_global_fcn_fixedIZN8rajaperf4apps11MASSVEC3DPA17runHipVariantImplILm64ELm0EEEvNS1_9VariantIDEEUlNS_14LaunchContextTINS_3hip33LaunchContextIndicesAndDimsPolicyINS7_14IndicesAndDimsILb0ELb0ELb0ELb0EEEEEEEE_Li64ENS_4expt15ForallParamPackIJEEEEEvT_T1_.kd
    .uniform_work_group_size: 1
    .uses_dynamic_stack: false
    .vgpr_count:     58
    .vgpr_spill_count: 0
    .wavefront_size: 32
    .workgroup_processor_mode: 1
  - .args:
      - .address_space:  global
        .offset:         0
        .size:           8
        .value_kind:     global_buffer
      - .address_space:  global
        .offset:         8
        .size:           8
        .value_kind:     global_buffer
      - .address_space:  global
        .offset:         16
        .size:           8
        .value_kind:     global_buffer
      - .address_space:  global
        .offset:         24
        .size:           8
        .value_kind:     global_buffer
    .group_segment_fixed_size: 1216
    .kernarg_segment_align: 8
    .kernarg_segment_size: 32
    .language:       OpenCL C
    .language_version:
      - 2
      - 0
    .max_flat_workgroup_size: 64
    .name:           _ZN8rajaperf4apps17MassVec3DPADirectILm64EEEvPdS2_S2_S2_
    .private_segment_fixed_size: 0
    .sgpr_count:     18
    .sgpr_spill_count: 0
    .symbol:         _ZN8rajaperf4apps17MassVec3DPADirectILm64EEEvPdS2_S2_S2_.kd
    .uniform_work_group_size: 1
    .uses_dynamic_stack: false
    .vgpr_count:     45
    .vgpr_spill_count: 0
    .wavefront_size: 32
    .workgroup_processor_mode: 1
  - .args:
      - .offset:         0
        .size:           40
        .value_kind:     by_value
      - .offset:         40
        .size:           1
        .value_kind:     by_value
    .group_segment_fixed_size: 1216
    .kernarg_segment_align: 8
    .kernarg_segment_size: 44
    .language:       OpenCL C
    .language_version:
      - 2
      - 0
    .max_flat_workgroup_size: 64
    .name:           _ZN4RAJA34launch_new_reduce_global_fcn_fixedIZN8rajaperf4apps11MASSVEC3DPA17runHipVariantImplILm64ELm1EEEvNS1_9VariantIDEEUlNS_14LaunchContextTINS_3hip33LaunchContextIndicesAndDimsPolicyINS7_14IndicesAndDimsILb0ELb0ELb0ELb0EEEEEEEE_Li64ENS_4expt15ForallParamPackIJEEEEEvT_T1_
    .private_segment_fixed_size: 0
    .sgpr_count:     16
    .sgpr_spill_count: 0
    .symbol:         _ZN4RAJA34launch_new_reduce_global_fcn_fixedIZN8rajaperf4apps11MASSVEC3DPA17runHipVariantImplILm64ELm1EEEvNS1_9VariantIDEEUlNS_14LaunchContextTINS_3hip33LaunchContextIndicesAndDimsPolicyINS7_14IndicesAndDimsILb0ELb0ELb0ELb0EEEEEEEE_Li64ENS_4expt15ForallParamPackIJEEEEEvT_T1_.kd
    .uniform_work_group_size: 1
    .uses_dynamic_stack: false
    .vgpr_count:     46
    .vgpr_spill_count: 0
    .wavefront_size: 32
    .workgroup_processor_mode: 1
  - .args:
      - .offset:         0
        .size:           40
        .value_kind:     by_value
      - .offset:         40
        .size:           1
        .value_kind:     by_value
      - .offset:         48
        .size:           4
        .value_kind:     hidden_block_count_x
      - .offset:         52
        .size:           4
        .value_kind:     hidden_block_count_y
      - .offset:         56
        .size:           4
        .value_kind:     hidden_block_count_z
      - .offset:         60
        .size:           2
        .value_kind:     hidden_group_size_x
      - .offset:         62
        .size:           2
        .value_kind:     hidden_group_size_y
      - .offset:         64
        .size:           2
        .value_kind:     hidden_group_size_z
      - .offset:         66
        .size:           2
        .value_kind:     hidden_remainder_x
      - .offset:         68
        .size:           2
        .value_kind:     hidden_remainder_y
      - .offset:         70
        .size:           2
        .value_kind:     hidden_remainder_z
      - .offset:         88
        .size:           8
        .value_kind:     hidden_global_offset_x
      - .offset:         96
        .size:           8
        .value_kind:     hidden_global_offset_y
      - .offset:         104
        .size:           8
        .value_kind:     hidden_global_offset_z
      - .offset:         112
        .size:           2
        .value_kind:     hidden_grid_dims
    .group_segment_fixed_size: 1216
    .kernarg_segment_align: 8
    .kernarg_segment_size: 304
    .language:       OpenCL C
    .language_version:
      - 2
      - 0
    .max_flat_workgroup_size: 64
    .name:           _ZN4RAJA34launch_new_reduce_global_fcn_fixedIZN8rajaperf4apps11MASSVEC3DPA17runHipVariantImplILm64ELm2EEEvNS1_9VariantIDEEUlNS_14LaunchContextTINS_3hip33LaunchContextIndicesAndDimsPolicyINS7_14IndicesAndDimsILb0ELb0ELb1ELb0EEEEEEEE_Li64ENS_4expt15ForallParamPackIJEEEEEvT_T1_
    .private_segment_fixed_size: 0
    .sgpr_count:     29
    .sgpr_spill_count: 0
    .symbol:         _ZN4RAJA34launch_new_reduce_global_fcn_fixedIZN8rajaperf4apps11MASSVEC3DPA17runHipVariantImplILm64ELm2EEEvNS1_9VariantIDEEUlNS_14LaunchContextTINS_3hip33LaunchContextIndicesAndDimsPolicyINS7_14IndicesAndDimsILb0ELb0ELb1ELb0EEEEEEEE_Li64ENS_4expt15ForallParamPackIJEEEEEvT_T1_.kd
    .uniform_work_group_size: 1
    .uses_dynamic_stack: false
    .vgpr_count:     62
    .vgpr_spill_count: 0
    .wavefront_size: 32
    .workgroup_processor_mode: 1
amdhsa.target:   amdgcn-amd-amdhsa--gfx1030
amdhsa.version:
  - 1
  - 2
...

	.end_amdgpu_metadata
